;; amdgpu-corpus repo=ROCm/rocFFT kind=compiled arch=gfx950 opt=O3
	.text
	.amdgcn_target "amdgcn-amd-amdhsa--gfx950"
	.amdhsa_code_object_version 6
	.protected	fft_rtc_back_len1521_factors_13_3_3_13_wgs_117_tpt_117_halfLds_sp_ip_CI_unitstride_sbrr_dirReg ; -- Begin function fft_rtc_back_len1521_factors_13_3_3_13_wgs_117_tpt_117_halfLds_sp_ip_CI_unitstride_sbrr_dirReg
	.globl	fft_rtc_back_len1521_factors_13_3_3_13_wgs_117_tpt_117_halfLds_sp_ip_CI_unitstride_sbrr_dirReg
	.p2align	8
	.type	fft_rtc_back_len1521_factors_13_3_3_13_wgs_117_tpt_117_halfLds_sp_ip_CI_unitstride_sbrr_dirReg,@function
fft_rtc_back_len1521_factors_13_3_3_13_wgs_117_tpt_117_halfLds_sp_ip_CI_unitstride_sbrr_dirReg: ; @fft_rtc_back_len1521_factors_13_3_3_13_wgs_117_tpt_117_halfLds_sp_ip_CI_unitstride_sbrr_dirReg
; %bb.0:
	s_load_dwordx2 s[8:9], s[0:1], 0x50
	s_load_dwordx4 s[4:7], s[0:1], 0x0
	s_load_dwordx2 s[10:11], s[0:1], 0x18
	v_mul_u32_u24_e32 v1, 0x231, v0
	v_add_u32_sdwa v6, s2, v1 dst_sel:DWORD dst_unused:UNUSED_PAD src0_sel:DWORD src1_sel:WORD_1
	v_mov_b32_e32 v4, 0
	s_waitcnt lgkmcnt(0)
	v_cmp_lt_u64_e64 s[2:3], s[6:7], 2
	v_mov_b32_e32 v7, v4
	s_and_b64 vcc, exec, s[2:3]
	v_mov_b64_e32 v[2:3], 0
	s_cbranch_vccnz .LBB0_8
; %bb.1:
	s_load_dwordx2 s[2:3], s[0:1], 0x10
	s_add_u32 s12, s10, 8
	s_addc_u32 s13, s11, 0
	s_mov_b64 s[14:15], 1
	v_mov_b64_e32 v[2:3], 0
	s_waitcnt lgkmcnt(0)
	s_add_u32 s16, s2, 8
	s_addc_u32 s17, s3, 0
.LBB0_2:                                ; =>This Inner Loop Header: Depth=1
	s_load_dwordx2 s[18:19], s[16:17], 0x0
                                        ; implicit-def: $vgpr8_vgpr9
	s_waitcnt lgkmcnt(0)
	v_or_b32_e32 v5, s19, v7
	v_cmp_ne_u64_e32 vcc, 0, v[4:5]
	s_and_saveexec_b64 s[2:3], vcc
	s_xor_b64 s[20:21], exec, s[2:3]
	s_cbranch_execz .LBB0_4
; %bb.3:                                ;   in Loop: Header=BB0_2 Depth=1
	v_cvt_f32_u32_e32 v1, s18
	v_cvt_f32_u32_e32 v5, s19
	s_sub_u32 s2, 0, s18
	s_subb_u32 s3, 0, s19
	v_fmac_f32_e32 v1, 0x4f800000, v5
	v_rcp_f32_e32 v1, v1
	s_nop 0
	v_mul_f32_e32 v1, 0x5f7ffffc, v1
	v_mul_f32_e32 v5, 0x2f800000, v1
	v_trunc_f32_e32 v5, v5
	v_fmac_f32_e32 v1, 0xcf800000, v5
	v_cvt_u32_f32_e32 v5, v5
	v_cvt_u32_f32_e32 v1, v1
	v_mul_lo_u32 v8, s2, v5
	v_mul_hi_u32 v10, s2, v1
	v_mul_lo_u32 v9, s3, v1
	v_add_u32_e32 v10, v10, v8
	v_mul_lo_u32 v12, s2, v1
	v_add_u32_e32 v13, v10, v9
	v_mul_hi_u32 v8, v1, v12
	v_mul_hi_u32 v11, v1, v13
	v_mul_lo_u32 v10, v1, v13
	v_mov_b32_e32 v9, v4
	v_lshl_add_u64 v[8:9], v[8:9], 0, v[10:11]
	v_mul_hi_u32 v11, v5, v12
	v_mul_lo_u32 v12, v5, v12
	v_add_co_u32_e32 v8, vcc, v8, v12
	v_mul_hi_u32 v10, v5, v13
	s_nop 0
	v_addc_co_u32_e32 v8, vcc, v9, v11, vcc
	v_mov_b32_e32 v9, v4
	s_nop 0
	v_addc_co_u32_e32 v11, vcc, 0, v10, vcc
	v_mul_lo_u32 v10, v5, v13
	v_lshl_add_u64 v[8:9], v[8:9], 0, v[10:11]
	v_add_co_u32_e32 v1, vcc, v1, v8
	v_mul_lo_u32 v10, s2, v1
	s_nop 0
	v_addc_co_u32_e32 v5, vcc, v5, v9, vcc
	v_mul_lo_u32 v8, s2, v5
	v_mul_hi_u32 v9, s2, v1
	v_add_u32_e32 v8, v9, v8
	v_mul_lo_u32 v9, s3, v1
	v_add_u32_e32 v12, v8, v9
	v_mul_hi_u32 v14, v5, v10
	v_mul_lo_u32 v15, v5, v10
	v_mul_hi_u32 v9, v1, v12
	v_mul_lo_u32 v8, v1, v12
	v_mul_hi_u32 v10, v1, v10
	v_mov_b32_e32 v11, v4
	v_lshl_add_u64 v[8:9], v[10:11], 0, v[8:9]
	v_add_co_u32_e32 v8, vcc, v8, v15
	v_mul_hi_u32 v13, v5, v12
	s_nop 0
	v_addc_co_u32_e32 v8, vcc, v9, v14, vcc
	v_mul_lo_u32 v10, v5, v12
	s_nop 0
	v_addc_co_u32_e32 v11, vcc, 0, v13, vcc
	v_mov_b32_e32 v9, v4
	v_lshl_add_u64 v[8:9], v[8:9], 0, v[10:11]
	v_add_co_u32_e32 v1, vcc, v1, v8
	v_mul_hi_u32 v10, v6, v1
	s_nop 0
	v_addc_co_u32_e32 v5, vcc, v5, v9, vcc
	v_mad_u64_u32 v[8:9], s[2:3], v6, v5, 0
	v_mov_b32_e32 v11, v4
	v_lshl_add_u64 v[8:9], v[10:11], 0, v[8:9]
	v_mad_u64_u32 v[12:13], s[2:3], v7, v1, 0
	v_add_co_u32_e32 v1, vcc, v8, v12
	v_mad_u64_u32 v[10:11], s[2:3], v7, v5, 0
	s_nop 0
	v_addc_co_u32_e32 v8, vcc, v9, v13, vcc
	v_mov_b32_e32 v9, v4
	s_nop 0
	v_addc_co_u32_e32 v11, vcc, 0, v11, vcc
	v_lshl_add_u64 v[8:9], v[8:9], 0, v[10:11]
	v_mul_lo_u32 v1, s19, v8
	v_mul_lo_u32 v5, s18, v9
	v_mad_u64_u32 v[10:11], s[2:3], s18, v8, 0
	v_add3_u32 v1, v11, v5, v1
	v_sub_u32_e32 v5, v7, v1
	v_mov_b32_e32 v11, s19
	v_sub_co_u32_e32 v14, vcc, v6, v10
	v_lshl_add_u64 v[12:13], v[8:9], 0, 1
	s_nop 0
	v_subb_co_u32_e64 v5, s[2:3], v5, v11, vcc
	v_subrev_co_u32_e64 v10, s[2:3], s18, v14
	v_subb_co_u32_e32 v1, vcc, v7, v1, vcc
	s_nop 0
	v_subbrev_co_u32_e64 v5, s[2:3], 0, v5, s[2:3]
	v_cmp_le_u32_e64 s[2:3], s19, v5
	v_cmp_le_u32_e32 vcc, s19, v1
	s_nop 0
	v_cndmask_b32_e64 v11, 0, -1, s[2:3]
	v_cmp_le_u32_e64 s[2:3], s18, v10
	s_nop 1
	v_cndmask_b32_e64 v10, 0, -1, s[2:3]
	v_cmp_eq_u32_e64 s[2:3], s19, v5
	s_nop 1
	v_cndmask_b32_e64 v5, v11, v10, s[2:3]
	v_lshl_add_u64 v[10:11], v[8:9], 0, 2
	v_cmp_ne_u32_e64 s[2:3], 0, v5
	s_nop 1
	v_cndmask_b32_e64 v5, v13, v11, s[2:3]
	v_cndmask_b32_e64 v11, 0, -1, vcc
	v_cmp_le_u32_e32 vcc, s18, v14
	s_nop 1
	v_cndmask_b32_e64 v13, 0, -1, vcc
	v_cmp_eq_u32_e32 vcc, s19, v1
	s_nop 1
	v_cndmask_b32_e32 v1, v11, v13, vcc
	v_cmp_ne_u32_e32 vcc, 0, v1
	v_cndmask_b32_e64 v1, v12, v10, s[2:3]
	s_nop 0
	v_cndmask_b32_e32 v9, v9, v5, vcc
	v_cndmask_b32_e32 v8, v8, v1, vcc
.LBB0_4:                                ;   in Loop: Header=BB0_2 Depth=1
	s_andn2_saveexec_b64 s[2:3], s[20:21]
	s_cbranch_execz .LBB0_6
; %bb.5:                                ;   in Loop: Header=BB0_2 Depth=1
	v_cvt_f32_u32_e32 v1, s18
	s_sub_i32 s20, 0, s18
	v_rcp_iflag_f32_e32 v1, v1
	s_nop 0
	v_mul_f32_e32 v1, 0x4f7ffffe, v1
	v_cvt_u32_f32_e32 v1, v1
	v_mul_lo_u32 v5, s20, v1
	v_mul_hi_u32 v5, v1, v5
	v_add_u32_e32 v1, v1, v5
	v_mul_hi_u32 v1, v6, v1
	v_mul_lo_u32 v5, v1, s18
	v_sub_u32_e32 v5, v6, v5
	v_add_u32_e32 v8, 1, v1
	v_subrev_u32_e32 v9, s18, v5
	v_cmp_le_u32_e32 vcc, s18, v5
	s_nop 1
	v_cndmask_b32_e32 v5, v5, v9, vcc
	v_cndmask_b32_e32 v1, v1, v8, vcc
	v_add_u32_e32 v8, 1, v1
	v_cmp_le_u32_e32 vcc, s18, v5
	v_mov_b32_e32 v9, v4
	s_nop 0
	v_cndmask_b32_e32 v8, v1, v8, vcc
.LBB0_6:                                ;   in Loop: Header=BB0_2 Depth=1
	s_or_b64 exec, exec, s[2:3]
	v_mad_u64_u32 v[10:11], s[2:3], v8, s18, 0
	s_load_dwordx2 s[2:3], s[12:13], 0x0
	v_mul_lo_u32 v1, v9, s18
	v_mul_lo_u32 v5, v8, s19
	v_add3_u32 v1, v11, v5, v1
	v_sub_co_u32_e32 v5, vcc, v6, v10
	s_add_u32 s14, s14, 1
	s_nop 0
	v_subb_co_u32_e32 v1, vcc, v7, v1, vcc
	s_addc_u32 s15, s15, 0
	s_waitcnt lgkmcnt(0)
	v_mul_lo_u32 v1, s2, v1
	v_mul_lo_u32 v6, s3, v5
	v_mad_u64_u32 v[2:3], s[2:3], s2, v5, v[2:3]
	s_add_u32 s12, s12, 8
	v_add3_u32 v3, v6, v3, v1
	s_addc_u32 s13, s13, 0
	v_mov_b64_e32 v[6:7], s[6:7]
	s_add_u32 s16, s16, 8
	v_cmp_ge_u64_e32 vcc, s[14:15], v[6:7]
	s_addc_u32 s17, s17, 0
	s_cbranch_vccnz .LBB0_9
; %bb.7:                                ;   in Loop: Header=BB0_2 Depth=1
	v_mov_b64_e32 v[6:7], v[8:9]
	s_branch .LBB0_2
.LBB0_8:
	v_mov_b64_e32 v[8:9], v[6:7]
.LBB0_9:
	s_lshl_b64 s[2:3], s[6:7], 3
	s_add_u32 s2, s10, s2
	s_addc_u32 s3, s11, s3
	s_load_dwordx2 s[6:7], s[2:3], 0x0
	s_load_dwordx2 s[10:11], s[0:1], 0x20
	s_mov_b32 s2, 0x2302303
                                        ; implicit-def: $vgpr24
                                        ; implicit-def: $vgpr30
                                        ; implicit-def: $vgpr26
                                        ; implicit-def: $vgpr28
                                        ; implicit-def: $vgpr16
                                        ; implicit-def: $vgpr12
                                        ; implicit-def: $vgpr10
                                        ; implicit-def: $vgpr14
                                        ; implicit-def: $vgpr18
                                        ; implicit-def: $vgpr20
                                        ; implicit-def: $vgpr22
	s_waitcnt lgkmcnt(0)
	v_mul_lo_u32 v1, s6, v9
	v_mul_lo_u32 v4, s7, v8
	v_mad_u64_u32 v[6:7], s[0:1], s6, v8, v[2:3]
	v_add3_u32 v7, v4, v7, v1
	v_mul_hi_u32 v1, v0, s2
	v_mul_u32_u24_e32 v1, 0x75, v1
	v_mov_b64_e32 v[2:3], 0
	v_cmp_gt_u64_e64 s[0:1], s[10:11], v[8:9]
	v_sub_u32_e32 v4, v0, v1
	v_lshl_add_u64 v[0:1], v[6:7], 3, s[8:9]
	v_mov_b64_e32 v[6:7], v[2:3]
                                        ; implicit-def: $vgpr8
	s_and_saveexec_b64 s[2:3], s[0:1]
	s_cbranch_execz .LBB0_11
; %bb.10:
	v_mov_b32_e32 v5, 0
	v_lshl_add_u64 v[2:3], v[4:5], 3, v[0:1]
	v_add_co_u32_e32 v24, vcc, 0x1000, v2
	global_load_dwordx2 v[6:7], v[2:3], off
	global_load_dwordx2 v[32:33], v[2:3], off offset:936
	global_load_dwordx2 v[26:27], v[2:3], off offset:1872
	;; [unrolled: 1-line block ×3, first 2 shown]
	v_addc_co_u32_e32 v25, vcc, 0, v3, vcc
	global_load_dwordx2 v[30:31], v[2:3], off offset:3744
	global_load_dwordx2 v[16:17], v[24:25], off offset:584
	;; [unrolled: 1-line block ×4, first 2 shown]
	v_add_co_u32_e32 v2, vcc, 0x2000, v2
	s_nop 1
	v_addc_co_u32_e32 v3, vcc, 0, v3, vcc
	global_load_dwordx2 v[20:21], v[24:25], off offset:3392
	global_load_dwordx2 v[18:19], v[2:3], off offset:232
	;; [unrolled: 1-line block ×5, first 2 shown]
	v_mov_b64_e32 v[2:3], v[4:5]
	s_waitcnt vmcnt(11)
	v_mov_b32_e32 v25, v33
	s_waitcnt vmcnt(8)
	v_mov_b32_e32 v24, v31
	v_mov_b32_e32 v31, v32
.LBB0_11:
	s_or_b64 exec, exec, s[2:3]
	s_mov_b32 s6, 0x3df6dbef
	v_add_f32_e32 v5, v31, v6
	s_waitcnt vmcnt(1)
	v_pk_add_f32 v[34:35], v[26:27], v[10:11] neg_lo:[0,1] neg_hi:[0,1]
	v_pk_add_f32 v[32:33], v[26:27], v[10:11]
	s_mov_b32 s7, 0x3f116cb1
	v_add_f32_e32 v5, v26, v5
	s_mov_b32 s10, 0xbf6f5d39
	v_mov_b32_e32 v36, v35
	v_mov_b32_e32 v37, v32
	s_mov_b32 s12, 0xbf52af12
	s_mov_b32 s13, s7
	;; [unrolled: 1-line block ×3, first 2 shown]
	v_add_f32_e32 v48, v28, v5
	s_waitcnt vmcnt(0)
	v_pk_add_f32 v[46:47], v[24:25], v[8:9] neg_lo:[0,1] neg_hi:[0,1]
	s_mov_b32 s11, 0xbe750f2a
	v_pk_mul_f32 v[44:45], v[36:37], s[12:13]
	s_mov_b32 s8, 0xbf3f9e67
	s_mov_b32 s14, 0x3f29c268
	;; [unrolled: 1-line block ×4, first 2 shown]
	v_mov_b32_e32 v49, v8
	s_mov_b32 s28, s10
	s_mov_b32 s29, s17
	v_mov_b32_e32 v5, v44
	s_mov_b32 s9, 0x3f62ad3f
	s_mov_b32 s15, 0x3eedf032
	;; [unrolled: 1-line block ×3, first 2 shown]
	v_pk_add_f32 v[48:49], v[30:31], v[48:49]
	v_pk_mul_f32 v[52:53], v[46:47], s[28:29] op_sel:[1,0]
	s_mov_b32 s30, s14
	s_mov_b32 s31, s20
	;; [unrolled: 1-line block ×4, first 2 shown]
	v_pk_fma_f32 v[50:51], v[36:37], s[12:13], v[4:5]
	v_pk_add_f32 v[38:39], v[28:29], v[14:15] neg_lo:[0,1] neg_hi:[0,1]
	s_mov_b32 s13, 0xbf7e222b
	v_mov_b32_e32 v40, v30
	v_mov_b32_e32 v41, v24
	s_mov_b32 s22, s8
	s_mov_b32 s23, s6
	v_pk_mul_f32 v[64:65], v[34:35], s[30:31] op_sel:[1,0]
	s_mov_b32 s34, s15
	s_mov_b32 s35, s12
	v_pk_fma_f32 v[56:57], v[48:49], s[38:39], v[52:53] op_sel:[1,0,0] neg_lo:[0,0,1] neg_hi:[0,0,1]
	v_pk_add_f32 v[36:37], v[28:29], v[14:15]
	v_pk_add_f32 v[42:43], v[40:41], v[18:19] neg_lo:[0,1] neg_hi:[0,1]
	s_mov_b32 s24, s9
	s_mov_b32 s25, s7
	v_pk_mul_f32 v[66:67], v[38:39], s[34:35] op_sel:[1,0]
	s_mov_b32 s37, 0x3e750f2a
	s_mov_b32 s36, s13
	v_pk_fma_f32 v[54:55], v[32:33], s[22:23], v[64:65] op_sel_hi:[0,1,1] neg_lo:[0,0,1] neg_hi:[0,0,1]
	v_pk_add_f32 v[56:57], v[56:57], v[6:7] op_sel_hi:[1,0]
	v_pk_add_f32 v[40:41], v[40:41], v[18:19]
	s_mov_b32 s26, s6
	s_mov_b32 s27, s19
	v_pk_mul_f32 v[68:69], v[42:43], s[36:37] op_sel:[1,0]
	v_pk_add_f32 v[54:55], v[54:55], v[56:57]
	v_pk_fma_f32 v[56:57], v[36:37], s[24:25], v[66:67] op_sel_hi:[0,1,1] neg_lo:[0,0,1] neg_hi:[0,0,1]
	v_pk_add_f32 v[54:55], v[56:57], v[54:55]
	v_pk_fma_f32 v[56:57], v[40:41], s[26:27], v[68:69] op_sel_hi:[0,1,1] neg_lo:[0,0,1] neg_hi:[0,0,1]
	v_pk_add_f32 v[60:61], v[16:17], v[20:21] neg_lo:[0,1] neg_hi:[0,1]
	s_mov_b32 s44, s37
	s_mov_b32 s45, s15
	v_pk_add_f32 v[56:57], v[56:57], v[54:55]
	s_mov_b32 s40, s19
	s_mov_b32 s41, s9
	v_pk_add_f32 v[54:55], v[16:17], v[20:21]
	v_pk_mul_f32 v[70:71], v[60:61], s[44:45] op_sel:[1,0]
	s_mov_b32 s46, 0x3f52af12
	v_pk_fma_f32 v[58:59], v[54:55], s[40:41], v[70:71] op_sel_hi:[0,1,1] neg_lo:[0,0,1] neg_hi:[0,0,1]
	v_pk_add_f32 v[62:63], v[58:59], v[56:57]
	s_mov_b32 s47, s10
	v_pk_add_f32 v[56:57], v[12:13], v[22:23] neg_lo:[0,1] neg_hi:[0,1]
	s_mov_b32 s42, s7
	s_mov_b32 s43, s18
	v_pk_add_f32 v[58:59], v[12:13], v[22:23]
	v_pk_mul_f32 v[72:73], v[56:57], s[46:47] op_sel:[1,0]
	v_mad_u32_u24 v26, v4, 52, 0
	v_pk_fma_f32 v[74:75], v[58:59], s[42:43], v[72:73] op_sel_hi:[0,1,1] neg_lo:[0,0,1] neg_hi:[0,0,1]
	v_pk_add_f32 v[62:63], v[74:75], v[62:63]
	ds_write2_b32 v26, v63, v62 offset0:8 offset1:9
	v_mov_b32_e32 v62, v39
	v_mov_b32_e32 v63, v36
	s_mov_b32 s2, s13
	s_mov_b32 s3, s6
	v_pk_mul_f32 v[74:75], v[62:63], s[2:3]
	v_pk_fma_f32 v[52:53], v[48:49], s[38:39], v[52:53] op_sel:[1,0,0]
	v_mov_b32_e32 v5, v74
	v_pk_fma_f32 v[76:77], v[62:63], s[2:3], v[4:5]
	v_mov_b32_e32 v62, v43
	v_mov_b32_e32 v63, v40
	s_mov_b32 s2, s10
	s_mov_b32 s3, s18
	v_pk_mul_f32 v[78:79], v[62:63], s[2:3]
	v_pk_fma_f32 v[64:65], v[32:33], s[22:23], v[64:65] op_sel_hi:[0,1,1]
	v_mov_b32_e32 v5, v78
	v_pk_fma_f32 v[80:81], v[62:63], s[2:3], v[4:5]
	v_mov_b32_e32 v62, v61
	v_mov_b32_e32 v63, v54
	s_mov_b32 s2, s17
	s_mov_b32 s3, s8
	v_pk_mul_f32 v[82:83], v[62:63], s[2:3]
	v_pk_add_f32 v[52:53], v[52:53], v[6:7] op_sel_hi:[1,0]
	v_mov_b32_e32 v5, v82
	v_pk_fma_f32 v[84:85], v[62:63], s[2:3], v[4:5]
	v_mov_b32_e32 v62, v57
	v_mov_b32_e32 v63, v58
	s_mov_b32 s2, s11
	s_mov_b32 s3, s19
	v_pk_mul_f32 v[86:87], v[62:63], s[2:3]
	v_pk_add_f32 v[52:53], v[64:65], v[52:53]
	v_mov_b32_e32 v5, v86
	v_pk_fma_f32 v[88:89], v[62:63], s[2:3], v[4:5]
	v_mov_b32_e32 v63, 0x3f62ad3f
	v_mov_b32_e32 v62, v16
	v_pk_fma_f32 v[64:65], v[36:37], s[24:25], v[66:67] op_sel_hi:[0,1,1]
	v_pk_add_f32 v[90:91], v[16:17], v[48:49]
	v_pk_mul_f32 v[92:93], v[62:63], v[48:49]
	v_pk_add_f32 v[52:53], v[64:65], v[52:53]
	v_pk_fma_f32 v[64:65], v[40:41], s[26:27], v[68:69] op_sel_hi:[0,1,1]
	v_mov_b32_e32 v91, v93
	v_mul_f32_e32 v95, 0xbeedf032, v47
	v_mov_b32_e32 v94, v12
	v_pk_add_f32 v[52:53], v[64:65], v[52:53]
	v_pk_fma_f32 v[64:65], v[54:55], s[40:41], v[70:71] op_sel_hi:[0,1,1]
	v_pk_add_f32 v[90:91], v[94:95], v[90:91]
	v_mov_b32_e32 v94, v22
	v_mov_b32_e32 v95, v6
	v_pk_add_f32 v[52:53], v[64:65], v[52:53]
	v_pk_fma_f32 v[64:65], v[58:59], s[42:43], v[72:73] op_sel_hi:[0,1,1]
	v_pk_add_f32 v[90:91], v[94:95], v[90:91]
	v_mov_b32_e32 v50, v20
	v_mov_b32_e32 v84, v10
	v_pk_add_f32 v[52:53], v[64:65], v[52:53]
	v_mul_f32_e32 v10, 0x3f62ad3f, v32
	v_mul_f32_e32 v12, 0x3eedf032, v35
	v_pk_add_f32 v[50:51], v[50:51], v[90:91]
	v_mov_b32_e32 v76, v18
	ds_write2_b32 v26, v52, v53 offset0:4 offset1:5
	v_pk_add_f32 v[52:53], v[10:11], v[12:13]
	v_pk_add_f32 v[64:65], v[10:11], v[12:13] neg_lo:[0,1] neg_hi:[0,1]
	v_mul_f32_e32 v10, 0xbf3f9e67, v36
	v_mul_f32_e32 v12, 0xbf29c268, v39
	v_pk_add_f32 v[50:51], v[76:77], v[50:51]
	v_mov_b32_e32 v80, v14
	v_mov_b32_e32 v53, v64
	v_pk_add_f32 v[64:65], v[10:11], v[12:13]
	v_pk_add_f32 v[66:67], v[10:11], v[12:13] neg_lo:[0,1] neg_hi:[0,1]
	v_mul_f32_e32 v10, 0x3f116cb1, v40
	v_mul_f32_e32 v12, 0x3f52af12, v43
	v_pk_add_f32 v[50:51], v[80:81], v[50:51]
	v_mov_b32_e32 v65, v66
	v_pk_add_f32 v[66:67], v[10:11], v[12:13]
	v_pk_add_f32 v[68:69], v[10:11], v[12:13] neg_lo:[0,1] neg_hi:[0,1]
	v_mul_f32_e32 v10, 0xbeb58ec6, v54
	v_mul_f32_e32 v12, 0xbf6f5d39, v61
	v_pk_add_f32 v[50:51], v[84:85], v[50:51]
	v_mov_b32_e32 v88, v8
	v_mov_b32_e32 v67, v68
	v_pk_add_f32 v[68:69], v[10:11], v[12:13]
	v_pk_add_f32 v[70:71], v[10:11], v[12:13] neg_lo:[0,1] neg_hi:[0,1]
	v_mul_f32_e32 v10, 0x3df6dbef, v58
	v_mul_f32_e32 v12, 0x3f7e222b, v57
	v_pk_add_f32 v[50:51], v[88:89], v[50:51]
	v_mov_b32_e32 v69, v70
	v_pk_add_f32 v[70:71], v[10:11], v[12:13]
	v_pk_add_f32 v[72:73], v[10:11], v[12:13] neg_lo:[0,1] neg_hi:[0,1]
	v_mul_f32_e32 v10, 0xbe750f2a, v47
	v_mul_f32_e32 v12, 0xbf788fa5, v49
	ds_write2_b32 v26, v50, v51 offset1:1
	v_pk_mul_f32 v[50:51], v[46:47], s[12:13] op_sel:[1,0]
	v_mov_b32_e32 v71, v72
	v_fmac_f32_e32 v93, 0x3eedf032, v47
	v_pk_add_f32 v[46:47], v[12:13], v[10:11]
	v_pk_add_f32 v[72:73], v[12:13], v[10:11] neg_lo:[0,1] neg_hi:[0,1]
	s_mov_b32 s48, s7
	v_mov_b32_e32 v47, v72
	v_pk_add_f32 v[46:47], v[46:47], v[6:7] op_sel_hi:[1,0]
	s_mov_b32 s49, s6
	v_pk_add_f32 v[46:47], v[52:53], v[46:47]
	v_pk_fma_f32 v[76:77], v[48:49], s[48:49], v[50:51] op_sel:[1,0,0]
	v_pk_mul_f32 v[80:81], v[34:35], s[10:11] op_sel:[1,0]
	v_pk_add_f32 v[46:47], v[64:65], v[46:47]
	v_pk_add_f32 v[76:77], v[76:77], v[6:7] op_sel_hi:[1,0]
	v_pk_fma_f32 v[84:85], v[32:33], s[18:19], v[80:81] op_sel_hi:[0,1,1]
	s_mov_b32 s55, 0x3f6f5d39
	s_mov_b32 s54, s11
	v_pk_add_f32 v[46:47], v[66:67], v[46:47]
	v_pk_add_f32 v[76:77], v[84:85], v[76:77]
	s_mov_b32 s50, s19
	s_mov_b32 s51, s18
	v_pk_mul_f32 v[84:85], v[38:39], s[54:55] op_sel:[1,0]
	v_pk_add_f32 v[46:47], v[68:69], v[46:47]
	v_pk_fma_f32 v[88:89], v[36:37], s[50:51], v[84:85] op_sel_hi:[0,1,1]
	v_pk_add_f32 v[46:47], v[70:71], v[46:47]
	v_pk_add_f32 v[76:77], v[88:89], v[76:77]
	v_pk_mul_f32 v[88:89], v[42:43], s[14:15] op_sel:[1,0]
	ds_write2_b32 v26, v46, v47 offset0:6 offset1:7
	v_pk_fma_f32 v[46:47], v[48:49], s[48:49], v[50:51] op_sel:[1,0,0] neg_lo:[0,0,1] neg_hi:[0,0,1]
	v_pk_fma_f32 v[90:91], v[40:41], s[8:9], v[88:89] op_sel_hi:[0,1,1]
	s_mov_b32 s21, s12
	v_pk_fma_f32 v[48:49], v[32:33], s[18:19], v[80:81] op_sel_hi:[0,1,1] neg_lo:[0,0,1] neg_hi:[0,0,1]
	v_pk_add_f32 v[46:47], v[46:47], v[6:7] op_sel_hi:[1,0]
	v_sub_f32_e32 v5, v45, v44
	v_add_f32_e32 v18, v93, v6
	v_pk_add_f32 v[76:77], v[90:91], v[76:77]
	v_pk_mul_f32 v[90:91], v[60:61], s[20:21] op_sel:[1,0]
	v_pk_add_f32 v[46:47], v[48:49], v[46:47]
	v_pk_fma_f32 v[48:49], v[36:37], s[50:51], v[84:85] op_sel_hi:[0,1,1] neg_lo:[0,0,1] neg_hi:[0,0,1]
	v_sub_f32_e32 v10, v75, v74
	v_add_f32_e32 v5, v5, v18
	v_pk_fma_f32 v[94:95], v[54:55], s[6:7], v[90:91] op_sel_hi:[0,1,1]
	s_mov_b32 s16, s15
	v_pk_add_f32 v[46:47], v[48:49], v[46:47]
	v_pk_fma_f32 v[48:49], v[40:41], s[8:9], v[88:89] op_sel_hi:[0,1,1] neg_lo:[0,0,1] neg_hi:[0,0,1]
	v_sub_f32_e32 v12, v79, v78
	v_add_f32_e32 v5, v10, v5
	v_pk_add_f32 v[76:77], v[94:95], v[76:77]
	s_mov_b32 s52, s9
	s_mov_b32 s53, s8
	v_pk_mul_f32 v[94:95], v[56:57], s[16:17] op_sel:[1,0]
	v_pk_add_f32 v[46:47], v[48:49], v[46:47]
	v_sub_f32_e32 v14, v83, v82
	v_add_f32_e32 v5, v12, v5
	v_pk_fma_f32 v[44:45], v[54:55], s[6:7], v[90:91] op_sel_hi:[0,1,1] neg_lo:[0,0,1] neg_hi:[0,0,1]
	v_pk_fma_f32 v[96:97], v[58:59], s[52:53], v[94:95] op_sel_hi:[0,1,1]
	v_sub_f32_e32 v16, v87, v86
	v_add_f32_e32 v5, v14, v5
	v_pk_fma_f32 v[48:49], v[58:59], s[52:53], v[94:95] op_sel_hi:[0,1,1] neg_lo:[0,0,1] neg_hi:[0,0,1]
	v_pk_add_f32 v[44:45], v[44:45], v[46:47]
	s_movk_i32 s2, 0xffd0
	v_pk_add_f32 v[76:77], v[96:97], v[76:77]
	v_add_f32_e32 v10, v16, v5
	v_pk_add_f32 v[44:45], v[48:49], v[44:45]
	v_mad_i32_i24 v5, v4, s2, v26
	v_add_u32_e32 v66, 0xea, v4
	ds_write2_b32 v26, v76, v77 offset0:2 offset1:3
	ds_write2_b32 v26, v45, v44 offset0:10 offset1:11
	ds_write_b32 v26, v10 offset:48
	s_waitcnt lgkmcnt(0)
	s_barrier
	ds_read2_b32 v[44:45], v5 offset1:117
	v_add_u32_e32 v12, 0x600, v5
	v_add_u32_e32 v14, 0xe00, v5
	;; [unrolled: 1-line block ×5, first 2 shown]
	v_lshl_add_u32 v5, v66, 2, 0
	ds_read2_b32 v[52:53], v12 offset0:123 offset1:240
	ds_read2_b32 v[50:51], v14 offset0:118 offset1:235
	;; [unrolled: 1-line block ×4, first 2 shown]
	v_lshl_add_u32 v30, v65, 2, 0
	ds_read_b32 v22, v5
	ds_read_b32 v20, v30
	v_mul_i32_i24_e32 v12, 0xffffffd0, v4
	v_cmp_lt_u32_e64 s[2:3], 38, v4
	v_cmp_gt_u32_e32 vcc, 39, v4
	v_add_u32_e32 v64, v26, v12
                                        ; implicit-def: $vgpr28
                                        ; implicit-def: $vgpr67
	s_and_saveexec_b64 s[56:57], vcc
	s_cbranch_execz .LBB0_13
; %bb.12:
	ds_read_b32 v10, v64 offset:1872
	ds_read_b32 v67, v64 offset:3900
	ds_read_b32 v28, v64 offset:5928
.LBB0_13:
	s_or_b64 exec, exec, s[56:57]
	v_mov_b32_e32 v74, v33
	v_mov_b32_e32 v75, v34
	s_mov_b32 s56, s7
	s_mov_b32 s57, s12
	v_add_f32_e32 v12, v25, v7
	v_pk_mul_f32 v[76:77], v[74:75], s[56:57]
	v_add_f32_e32 v12, v27, v12
	v_mov_b32_e32 v27, v76
	v_add_f32_e32 v68, v29, v12
	v_pk_fma_f32 v[74:75], v[74:75], s[56:57], v[26:27] neg_lo:[1,0,0] neg_hi:[1,0,0]
	v_add_f32_e32 v29, v76, v77
	v_mov_b32_e32 v76, v37
	v_mov_b32_e32 v77, v38
	s_mov_b32 s56, s6
	s_mov_b32 s57, s13
	v_pk_mul_f32 v[78:79], v[76:77], s[56:57]
	v_mov_b32_e32 v12, v31
	v_mov_b32_e32 v27, v78
	v_pk_fma_f32 v[76:77], v[76:77], s[56:57], v[26:27] neg_lo:[1,0,0] neg_hi:[1,0,0]
	v_add_f32_e32 v31, v78, v79
	v_mov_b32_e32 v78, v41
	v_mov_b32_e32 v79, v42
	s_mov_b32 s56, s18
	s_mov_b32 s57, s10
	v_pk_mul_f32 v[80:81], v[78:79], s[56:57]
	v_mov_b32_e32 v69, v9
	v_mov_b32_e32 v27, v80
	v_pk_add_f32 v[70:71], v[12:13], v[8:9] neg_lo:[0,1] neg_hi:[0,1]
	v_pk_fma_f32 v[78:79], v[78:79], s[56:57], v[26:27] neg_lo:[1,0,0] neg_hi:[1,0,0]
	v_mov_b32_e32 v84, v55
	v_mov_b32_e32 v85, v60
	s_mov_b32 s56, s8
	s_mov_b32 s57, s17
	v_pk_add_f32 v[24:25], v[24:25], v[68:69]
	v_mov_b32_e32 v62, v17
	v_mul_f32_e32 v73, 0xbeedf032, v70
	v_pk_mul_f32 v[86:87], v[84:85], s[56:57]
	v_pk_add_f32 v[68:69], v[62:63], v[24:25]
	v_mov_b32_e32 v72, v13
	v_mov_b32_e32 v27, v86
	v_pk_mul_f32 v[88:89], v[62:63], v[24:25]
	v_pk_add_f32 v[68:69], v[68:69], v[72:73]
	v_pk_fma_f32 v[62:63], v[62:63], v[24:25], v[72:73] neg_lo:[0,0,1] neg_hi:[0,0,1]
	v_pk_fma_f32 v[84:85], v[84:85], s[56:57], v[26:27] neg_lo:[1,0,0] neg_hi:[1,0,0]
	v_mov_b32_e32 v69, v63
	v_mov_b32_e32 v62, v23
	;; [unrolled: 1-line block ×3, first 2 shown]
	v_fmac_f32_e32 v89, 0xbeedf032, v70
	v_pk_add_f32 v[62:63], v[62:63], v[68:69]
	v_mov_b32_e32 v74, v21
	v_mov_b32_e32 v84, v11
	v_add_f32_e32 v11, v89, v7
	v_pk_add_f32 v[62:63], v[74:75], v[62:63]
	v_mov_b32_e32 v76, v19
	v_add_f32_e32 v11, v29, v11
	v_add_f32_e32 v81, v80, v81
	v_pk_add_f32 v[62:63], v[76:77], v[62:63]
	v_mov_b32_e32 v78, v15
	v_add_f32_e32 v11, v31, v11
	v_mov_b32_e32 v76, v59
	v_mov_b32_e32 v77, v56
	s_mov_b32 s56, s19
	s_mov_b32 s57, s11
	v_pk_add_f32 v[62:63], v[78:79], v[62:63]
	v_add_f32_e32 v11, v81, v11
	v_add_f32_e32 v13, v86, v87
	v_pk_mul_f32 v[78:79], v[76:77], s[56:57]
	v_add_f32_e32 v13, v13, v11
	v_mov_b32_e32 v11, v78
	s_waitcnt lgkmcnt(2)
	v_pk_fma_f32 v[76:77], v[76:77], s[56:57], v[10:11] neg_lo:[1,0,0] neg_hi:[1,0,0]
	v_pk_add_f32 v[62:63], v[84:85], v[62:63]
	v_mov_b32_e32 v76, v9
	v_pk_add_f32 v[62:63], v[76:77], v[62:63]
	v_pk_mul_f32 v[76:77], v[70:71], s[12:13] op_sel_hi:[0,1]
	v_add_f32_e32 v9, v78, v79
	v_pk_mul_f32 v[78:79], v[34:35], s[10:11] op_sel_hi:[0,1]
	v_pk_fma_f32 v[94:95], v[24:25], s[48:49], v[76:77] op_sel:[1,0,0] neg_lo:[0,0,1] neg_hi:[0,0,1]
	v_pk_fma_f32 v[84:85], v[32:33], s[18:19], v[78:79] op_sel:[1,0,0] neg_lo:[0,0,1] neg_hi:[0,0,1]
	v_pk_mul_f32 v[86:87], v[38:39], s[54:55] op_sel_hi:[0,1]
	v_pk_add_f32 v[94:95], v[94:95], v[6:7] op_sel:[0,1]
	v_pk_fma_f32 v[76:77], v[24:25], s[48:49], v[76:77] op_sel:[1,0,0]
	v_pk_fma_f32 v[88:89], v[36:37], s[50:51], v[86:87] op_sel:[1,0,0] neg_lo:[0,0,1] neg_hi:[0,0,1]
	v_pk_mul_f32 v[90:91], v[42:43], s[14:15] op_sel_hi:[0,1]
	v_pk_add_f32 v[84:85], v[84:85], v[94:95]
	v_pk_fma_f32 v[78:79], v[32:33], s[18:19], v[78:79] op_sel:[1,0,0]
	v_pk_add_f32 v[76:77], v[76:77], v[6:7] op_sel:[0,1]
	v_pk_fma_f32 v[92:93], v[40:41], s[8:9], v[90:91] op_sel:[1,0,0] neg_lo:[0,0,1] neg_hi:[0,0,1]
	v_pk_add_f32 v[84:85], v[88:89], v[84:85]
	v_pk_mul_f32 v[88:89], v[60:61], s[20:21] op_sel_hi:[0,1]
	v_pk_fma_f32 v[86:87], v[36:37], s[50:51], v[86:87] op_sel:[1,0,0]
	v_pk_add_f32 v[76:77], v[78:79], v[76:77]
	v_pk_add_f32 v[84:85], v[92:93], v[84:85]
	v_pk_fma_f32 v[92:93], v[54:55], s[6:7], v[88:89] op_sel:[1,0,0] neg_lo:[0,0,1] neg_hi:[0,0,1]
	v_pk_fma_f32 v[90:91], v[40:41], s[8:9], v[90:91] op_sel:[1,0,0]
	v_pk_add_f32 v[76:77], v[86:87], v[76:77]
	v_mul_f32_e32 v8, 0xbe750f2a, v70
	v_pk_add_f32 v[84:85], v[92:93], v[84:85]
	v_pk_mul_f32 v[92:93], v[56:57], s[16:17] op_sel_hi:[0,1]
	v_pk_add_f32 v[76:77], v[90:91], v[76:77]
	v_pk_fma_f32 v[78:79], v[54:55], s[6:7], v[88:89] op_sel:[1,0,0]
	v_pk_mul_f32 v[70:71], v[70:71], s[28:29] op_sel_hi:[0,1]
	v_mul_f32_e32 v14, 0x3eedf032, v34
	v_mul_f32_e32 v68, 0xbf788fa5, v25
	v_pk_add_f32 v[76:77], v[78:79], v[76:77]
	v_pk_fma_f32 v[78:79], v[58:59], s[52:53], v[92:93] op_sel:[1,0,0]
	v_pk_mul_f32 v[34:35], v[34:35], s[30:31] op_sel_hi:[0,1]
	v_pk_fma_f32 v[90:91], v[24:25], s[38:39], v[70:71] op_sel:[1,0,0] neg_lo:[0,0,1] neg_hi:[0,0,1]
	v_pk_fma_f32 v[24:25], v[24:25], s[38:39], v[70:71] op_sel:[1,0,0]
	v_mul_f32_e32 v12, 0x3f62ad3f, v33
	v_mul_f32_e32 v18, 0xbf29c268, v38
	v_pk_add_f32 v[76:77], v[78:79], v[76:77]
	v_pk_fma_f32 v[78:79], v[32:33], s[22:23], v[34:35] op_sel:[1,0,0] neg_lo:[0,0,1] neg_hi:[0,0,1]
	v_pk_mul_f32 v[38:39], v[38:39], s[34:35] op_sel_hi:[0,1]
	v_pk_fma_f32 v[32:33], v[32:33], s[22:23], v[34:35] op_sel:[1,0,0]
	v_pk_add_f32 v[24:25], v[24:25], v[6:7] op_sel:[0,1]
	v_mul_f32_e32 v82, 0x3f52af12, v42
	v_pk_mul_f32 v[42:43], v[42:43], s[36:37] op_sel_hi:[0,1]
	v_pk_fma_f32 v[34:35], v[36:37], s[24:25], v[38:39] op_sel:[1,0,0]
	v_pk_add_f32 v[24:25], v[32:33], v[24:25]
	v_mul_f32_e32 v16, 0xbf3f9e67, v37
	v_pk_fma_f32 v[86:87], v[36:37], s[24:25], v[38:39] op_sel:[1,0,0] neg_lo:[0,0,1] neg_hi:[0,0,1]
	v_pk_fma_f32 v[36:37], v[40:41], s[26:27], v[42:43] op_sel:[1,0,0]
	v_pk_add_f32 v[24:25], v[34:35], v[24:25]
	v_add_f32_e32 v9, v9, v13
	v_pk_add_f32 v[24:25], v[36:37], v[24:25]
	v_pk_add_f32 v[36:37], v[12:13], v[14:15] neg_lo:[0,1] neg_hi:[0,1]
	v_pk_add_f32 v[12:13], v[12:13], v[14:15]
	v_mul_f32_e32 v80, 0x3f116cb1, v41
	v_mov_b32_e32 v37, v12
	v_pk_add_f32 v[12:13], v[16:17], v[18:19] neg_lo:[0,1] neg_hi:[0,1]
	v_pk_add_f32 v[14:15], v[16:17], v[18:19]
	v_pk_add_f32 v[16:17], v[80:81], v[82:83]
	v_mov_b32_e32 v13, v14
	v_pk_add_f32 v[14:15], v[80:81], v[82:83] neg_lo:[0,1] neg_hi:[0,1]
	v_pk_add_f32 v[90:91], v[90:91], v[6:7] op_sel:[0,1]
	v_mov_b32_e32 v15, v16
	v_pk_add_f32 v[16:17], v[68:69], v[8:9] neg_lo:[0,1] neg_hi:[0,1]
	v_pk_add_f32 v[18:19], v[68:69], v[8:9]
	v_pk_add_f32 v[78:79], v[78:79], v[90:91]
	v_mov_b32_e32 v17, v18
	v_mul_f32_e32 v74, 0xbf6f5d39, v60
	v_pk_fma_f32 v[88:89], v[40:41], s[26:27], v[42:43] op_sel:[1,0,0] neg_lo:[0,0,1] neg_hi:[0,0,1]
	v_pk_add_f32 v[78:79], v[86:87], v[78:79]
	v_pk_mul_f32 v[60:61], v[60:61], s[44:45] op_sel_hi:[0,1]
	v_pk_add_f32 v[6:7], v[16:17], v[6:7] op_sel:[0,1]
	v_pk_add_f32 v[78:79], v[88:89], v[78:79]
	v_pk_fma_f32 v[86:87], v[54:55], s[40:41], v[60:61] op_sel:[1,0,0] neg_lo:[0,0,1] neg_hi:[0,0,1]
	v_pk_add_f32 v[6:7], v[36:37], v[6:7]
	v_mul_f32_e32 v72, 0xbeb58ec6, v55
	v_pk_add_f32 v[78:79], v[86:87], v[78:79]
	v_pk_mul_f32 v[86:87], v[56:57], s[46:47] op_sel_hi:[0,1]
	v_pk_fma_f32 v[32:33], v[54:55], s[40:41], v[60:61] op_sel:[1,0,0]
	v_pk_add_f32 v[6:7], v[12:13], v[6:7]
	v_pk_add_f32 v[24:25], v[32:33], v[24:25]
	v_pk_fma_f32 v[32:33], v[58:59], s[42:43], v[86:87] op_sel:[1,0,0]
	v_pk_add_f32 v[6:7], v[14:15], v[6:7]
	v_pk_add_f32 v[12:13], v[72:73], v[74:75] neg_lo:[0,1] neg_hi:[0,1]
	v_pk_add_f32 v[14:15], v[72:73], v[74:75]
	v_pk_add_f32 v[24:25], v[32:33], v[24:25]
	v_mul_f32_e32 v32, 0x3df6dbef, v59
	v_mul_f32_e32 v34, 0x3f7e222b, v56
	v_mov_b32_e32 v13, v14
	v_pk_add_f32 v[6:7], v[12:13], v[6:7]
	v_pk_add_f32 v[12:13], v[32:33], v[34:35] neg_lo:[0,1] neg_hi:[0,1]
	v_pk_add_f32 v[14:15], v[32:33], v[34:35]
	v_pk_fma_f32 v[94:95], v[58:59], s[52:53], v[92:93] op_sel:[1,0,0] neg_lo:[0,0,1] neg_hi:[0,0,1]
	v_mov_b32_e32 v13, v14
	v_pk_fma_f32 v[88:89], v[58:59], s[42:43], v[86:87] op_sel:[1,0,0] neg_lo:[0,0,1] neg_hi:[0,0,1]
	v_pk_add_f32 v[6:7], v[12:13], v[6:7]
	v_pk_add_f32 v[84:85], v[94:95], v[84:85]
	;; [unrolled: 1-line block ×3, first 2 shown]
	s_waitcnt lgkmcnt(0)
	s_barrier
	ds_write2_b32 v26, v62, v63 offset1:1
	ds_write2_b32 v26, v84, v85 offset0:2 offset1:3
	ds_write2_b32 v26, v78, v79 offset0:4 offset1:5
	;; [unrolled: 1-line block ×5, first 2 shown]
	ds_write_b32 v26, v9 offset:48
	v_add_u32_e32 v6, 0x600, v64
	s_waitcnt lgkmcnt(0)
	s_barrier
	ds_read2_b32 v[16:17], v6 offset0:123 offset1:240
	v_add_u32_e32 v6, 0xe00, v64
	ds_read2_b32 v[18:19], v6 offset0:118 offset1:235
	v_add_u32_e32 v6, 0xa00, v64
	v_add_u32_e32 v8, 0x1200, v64
	ds_read2_b32 v[14:15], v64 offset1:117
	ds_read2_b32 v[6:7], v6 offset0:101 offset1:218
	ds_read2_b32 v[12:13], v8 offset0:96 offset1:213
	ds_read_b32 v37, v5
	ds_read_b32 v36, v30
                                        ; implicit-def: $vgpr11
                                        ; implicit-def: $vgpr25
	s_and_saveexec_b64 s[6:7], vcc
	s_cbranch_execz .LBB0_15
; %bb.14:
	ds_read_b32 v9, v64 offset:1872
	ds_read_b32 v25, v64 offset:3900
	;; [unrolled: 1-line block ×3, first 2 shown]
.LBB0_15:
	s_or_b64 exec, exec, s[6:7]
	s_movk_i32 s6, 0x4f
	v_add_u16_e32 v32, 0x75, v4
	v_mul_lo_u16_sdwa v8, v4, s6 dst_sel:DWORD dst_unused:UNUSED_PAD src0_sel:BYTE_0 src1_sel:DWORD
	v_mul_lo_u16_sdwa v23, v32, s6 dst_sel:DWORD dst_unused:UNUSED_PAD src0_sel:BYTE_0 src1_sel:DWORD
	v_lshrrev_b16_e32 v31, 10, v8
	v_lshrrev_b16_e32 v80, 10, v23
	v_mul_lo_u16_e32 v8, 13, v31
	v_mul_lo_u16_e32 v23, 13, v80
	v_sub_u16_e32 v38, v4, v8
	v_mov_b32_e32 v8, 4
	v_sub_u16_e32 v81, v32, v23
	v_lshlrev_b32_sdwa v21, v8, v38 dst_sel:DWORD dst_unused:UNUSED_PAD src0_sel:DWORD src1_sel:BYTE_0
	v_lshlrev_b32_sdwa v8, v8, v81 dst_sel:DWORD dst_unused:UNUSED_PAD src0_sel:DWORD src1_sel:BYTE_0
	s_movk_i32 s6, 0x4ec5
	global_load_dwordx4 v[54:57], v21, s[4:5]
	global_load_dwordx4 v[58:61], v8, s[4:5]
	v_mul_u32_u24_sdwa v8, v66, s6 dst_sel:DWORD dst_unused:UNUSED_PAD src0_sel:WORD_0 src1_sel:DWORD
	v_lshrrev_b32_e32 v82, 18, v8
	v_mul_u32_u24_sdwa v21, v65, s6 dst_sel:DWORD dst_unused:UNUSED_PAD src0_sel:WORD_0 src1_sel:DWORD
	v_mul_lo_u16_e32 v8, 13, v82
	v_lshrrev_b32_e32 v84, 18, v21
	v_sub_u16_e32 v83, v66, v8
	v_mul_lo_u16_e32 v21, 13, v84
	v_lshlrev_b32_e32 v8, 4, v83
	v_sub_u16_e32 v85, v65, v21
	v_add_u32_e32 v33, 0x1d4, v4
	global_load_dwordx4 v[68:71], v8, s[4:5]
	v_lshlrev_b32_e32 v8, 4, v85
	global_load_dwordx4 v[72:75], v8, s[4:5]
	v_mul_u32_u24_sdwa v8, v33, s6 dst_sel:DWORD dst_unused:UNUSED_PAD src0_sel:WORD_0 src1_sel:DWORD
	v_lshrrev_b32_e32 v23, 18, v8
	v_mul_lo_u16_e32 v8, 13, v23
	v_sub_u16_e32 v21, v33, v8
	v_lshlrev_b32_e32 v8, 4, v21
	global_load_dwordx4 v[76:79], v8, s[4:5]
	s_mov_b32 s7, 0x5040100
	s_waitcnt lgkmcnt(0)
	s_barrier
	s_movk_i32 s6, 0x9c
	s_waitcnt vmcnt(4)
	v_mul_f32_e32 v42, v16, v55
	v_mul_f32_e32 v43, v18, v57
	;; [unrolled: 1-line block ×3, first 2 shown]
	s_waitcnt vmcnt(3)
	v_mul_f32_e32 v40, v17, v59
	v_mul_f32_e32 v57, v53, v59
	;; [unrolled: 1-line block ×4, first 2 shown]
	v_fmac_f32_e32 v42, v52, v54
	v_fmac_f32_e32 v43, v50, v56
	;; [unrolled: 1-line block ×3, first 2 shown]
	v_fma_f32 v51, v19, v60, -v59
	v_mul_f32_e32 v26, v52, v55
	s_waitcnt vmcnt(2)
	v_mul_f32_e32 v29, v6, v69
	v_mul_f32_e32 v39, v12, v71
	;; [unrolled: 1-line block ×4, first 2 shown]
	v_fmac_f32_e32 v29, v48, v68
	v_fmac_f32_e32 v39, v46, v70
	s_waitcnt vmcnt(1)
	v_mul_f32_e32 v8, v7, v73
	v_fma_f32 v48, v6, v68, -v61
	s_waitcnt vmcnt(0)
	v_mul_f32_e32 v62, v11, v79
	v_fma_f32 v50, v12, v70, -v69
	v_add_f32_e32 v6, v44, v42
	v_add_f32_e32 v19, v29, v39
	v_mul_f32_e32 v24, v13, v75
	v_mul_f32_e32 v34, v25, v77
	;; [unrolled: 1-line block ×4, first 2 shown]
	v_fma_f32 v55, v18, v56, -v27
	v_fmac_f32_e32 v8, v49, v72
	v_fmac_f32_e32 v62, v28, v78
	v_add_f32_e32 v18, v22, v29
	v_add_f32_e32 v28, v6, v43
	v_fmac_f32_e32 v22, -0.5, v19
	v_sub_f32_e32 v6, v48, v50
	v_mul_f32_e32 v71, v49, v73
	v_mul_f32_e32 v73, v47, v75
	v_fmac_f32_e32 v40, v53, v58
	v_fmac_f32_e32 v24, v47, v74
	v_fmamk_f32 v19, v6, 0xbf5db3d7, v22
	v_fmac_f32_e32 v22, 0x3f5db3d7, v6
	v_add_f32_e32 v6, v20, v8
	v_mul_f32_e32 v63, v67, v77
	v_fma_f32 v54, v16, v54, -v26
	v_fma_f32 v52, v17, v58, -v57
	;; [unrolled: 1-line block ×4, first 2 shown]
	v_fmac_f32_e32 v34, v67, v76
	v_add_f32_e32 v7, v42, v43
	v_add_f32_e32 v16, v40, v41
	;; [unrolled: 1-line block ×5, first 2 shown]
	v_sub_f32_e32 v17, v52, v51
	v_fma_f32 v49, -0.5, v7, v44
	v_fmac_f32_e32 v45, -0.5, v16
	v_fmac_f32_e32 v20, -0.5, v6
	v_sub_f32_e32 v6, v46, v47
	v_add_f32_e32 v7, v34, v62
	v_fma_f32 v25, v11, v78, -v25
	v_pk_add_f32 v[26:27], v[34:35], v[62:63] neg_lo:[0,1] neg_hi:[0,1]
	v_sub_f32_e32 v12, v54, v55
	v_fmamk_f32 v57, v17, 0xbf5db3d7, v45
	v_fmac_f32_e32 v45, 0x3f5db3d7, v17
	v_fmamk_f32 v59, v6, 0xbf5db3d7, v20
	v_fmac_f32_e32 v20, 0x3f5db3d7, v6
	v_sub_f32_e32 v6, v27, v25
	v_mov_b32_e32 v16, 0x3f5db3d7
	v_mov_b32_e32 v17, v10
	v_fmac_f32_e32 v10, -0.5, v7
	v_mov_b32_e32 v7, v34
	v_add_f32_e32 v53, v13, v41
	v_fmamk_f32 v56, v12, 0xbf5db3d7, v49
	v_fmac_f32_e32 v49, 0x3f5db3d7, v12
	v_pk_mul_f32 v[12:13], v[16:17], v[6:7]
	v_pk_add_f32 v[6:7], v[16:17], v[6:7]
	v_mov_b32_e32 v11, v62
	v_mov_b32_e32 v13, v7
	v_pk_add_f32 v[6:7], v[12:13], v[10:11]
	v_mov_b32_e32 v13, 2
	v_mul_u32_u24_e32 v11, 0x9c, v31
	v_lshlrev_b32_sdwa v16, v13, v38 dst_sel:DWORD dst_unused:UNUSED_PAD src0_sel:DWORD src1_sel:BYTE_0
	v_add3_u32 v44, 0, v11, v16
	v_mul_u32_u24_e32 v11, 0x9c, v80
	v_lshlrev_b32_sdwa v13, v13, v81 dst_sel:DWORD dst_unused:UNUSED_PAD src0_sel:DWORD src1_sel:BYTE_0
	ds_write2_b32 v44, v28, v56 offset1:13
	ds_write_b32 v44, v49 offset:104
	v_add3_u32 v49, 0, v11, v13
	v_perm_b32 v11, v84, v82, s7
	v_pk_mul_lo_u16 v11, v11, s6 op_sel_hi:[1,0]
	v_lshlrev_b32_e32 v16, 2, v83
	v_and_b32_e32 v13, 0xfffc, v11
	ds_write2_b32 v49, v53, v57 offset1:13
	ds_write_b32 v49, v45 offset:104
	v_add3_u32 v53, 0, v13, v16
	v_lshrrev_b32_e32 v11, 16, v11
	v_lshlrev_b32_e32 v13, 2, v85
	v_add_f32_e32 v18, v18, v39
	v_add3_u32 v57, 0, v11, v13
	ds_write2_b32 v53, v18, v19 offset1:13
	ds_write_b32 v53, v22 offset:104
	ds_write2_b32 v57, v58, v59 offset1:13
	ds_write_b32 v57, v20 offset:104
	s_and_saveexec_b64 s[6:7], s[2:3]
	s_xor_b64 s[6:7], exec, s[6:7]
	s_or_saveexec_b64 s[6:7], s[6:7]
	v_sub_f32_e32 v38, v10, v12
	v_mul_lo_u16_e32 v45, 39, v23
	v_lshlrev_b32_e32 v56, 2, v21
	s_xor_b64 exec, exec, s[6:7]
	s_cbranch_execz .LBB0_17
; %bb.16:
	v_lshlrev_b32_e32 v10, 2, v45
	v_add3_u32 v10, 0, v56, v10
	ds_write2_b32 v10, v7, v38 offset1:13
	ds_write_b32 v10, v6 offset:104
.LBB0_17:
	s_or_b64 exec, exec, s[6:7]
	v_add_u32_e32 v10, 0x600, v64
	s_waitcnt lgkmcnt(0)
	s_barrier
	ds_read2_b32 v[16:17], v10 offset0:123 offset1:240
	v_add_u32_e32 v10, 0xe00, v64
	ds_read2_b32 v[18:19], v10 offset0:118 offset1:235
	v_add_u32_e32 v10, 0xa00, v64
	;; [unrolled: 2-line block ×3, first 2 shown]
	ds_read2_b32 v[12:13], v64 offset1:117
	ds_read2_b32 v[22:23], v10 offset0:96 offset1:213
	ds_read_b32 v35, v5
	ds_read_b32 v34, v30
	v_lshl_add_u32 v31, v4, 2, 0
	s_and_saveexec_b64 s[6:7], vcc
	s_cbranch_execz .LBB0_19
; %bb.18:
	ds_read_b32 v38, v64 offset:3900
	ds_read_b32 v7, v31 offset:1872
	;; [unrolled: 1-line block ×3, first 2 shown]
.LBB0_19:
	s_or_b64 exec, exec, s[6:7]
	v_add_f32_e32 v10, v14, v54
	v_add_f32_e32 v58, v10, v55
	;; [unrolled: 1-line block ×3, first 2 shown]
	v_fma_f32 v14, -0.5, v10, v14
	v_sub_f32_e32 v10, v42, v43
	v_fmamk_f32 v42, v10, 0x3f5db3d7, v14
	v_fmac_f32_e32 v14, 0xbf5db3d7, v10
	v_add_f32_e32 v10, v15, v52
	v_add_f32_e32 v43, v10, v51
	v_add_f32_e32 v10, v52, v51
	v_fmac_f32_e32 v15, -0.5, v10
	v_sub_f32_e32 v10, v40, v41
	v_fmamk_f32 v40, v10, 0x3f5db3d7, v15
	v_fmac_f32_e32 v15, 0xbf5db3d7, v10
	v_add_f32_e32 v10, v37, v48
	v_add_f32_e32 v41, v10, v50
	v_add_f32_e32 v10, v48, v50
	v_fmac_f32_e32 v37, -0.5, v10
	;; [unrolled: 7-line block ×3, first 2 shown]
	v_sub_f32_e32 v8, v8, v24
	v_fmamk_f32 v46, v8, 0x3f5db3d7, v36
	v_fmac_f32_e32 v36, 0xbf5db3d7, v8
	v_mov_b32_e32 v8, 0x3f5db3d7
	v_pk_mul_f32 v[28:29], v[8:9], v[26:27]
	v_pk_add_f32 v[10:11], v[8:9], v[26:27]
	v_add_f32_e32 v8, v27, v25
	v_fmac_f32_e32 v9, -0.5, v8
	v_mov_b32_e32 v29, v11
	v_mov_b32_e32 v24, v9
	v_pk_add_f32 v[10:11], v[28:29], v[24:25]
	s_waitcnt lgkmcnt(0)
	s_barrier
	ds_write2_b32 v44, v58, v42 offset1:13
	ds_write_b32 v44, v14 offset:104
	ds_write2_b32 v49, v43, v40 offset1:13
	ds_write_b32 v49, v15 offset:104
	;; [unrolled: 2-line block ×4, first 2 shown]
	s_and_saveexec_b64 s[6:7], s[2:3]
	s_xor_b64 s[2:3], exec, s[6:7]
; %bb.20:
                                        ; implicit-def: $vgpr45
                                        ; implicit-def: $vgpr56
; %bb.21:
	s_or_saveexec_b64 s[2:3], s[2:3]
	v_sub_f32_e32 v39, v9, v28
	s_xor_b64 exec, exec, s[2:3]
	s_cbranch_execz .LBB0_23
; %bb.22:
	v_lshlrev_b32_e32 v8, 2, v45
	v_add3_u32 v8, 0, v56, v8
	ds_write2_b32 v8, v11, v10 offset1:13
	ds_write_b32 v8, v39 offset:104
.LBB0_23:
	s_or_b64 exec, exec, s[2:3]
	v_add_u32_e32 v14, 0x600, v64
	v_add_u32_e32 v24, 0xe00, v64
	;; [unrolled: 1-line block ×4, first 2 shown]
	s_waitcnt lgkmcnt(0)
	s_barrier
	ds_read2_b32 v[8:9], v64 offset1:117
	ds_read2_b32 v[14:15], v14 offset0:123 offset1:240
	ds_read2_b32 v[24:25], v24 offset0:118 offset1:235
	;; [unrolled: 1-line block ×4, first 2 shown]
	ds_read_b32 v37, v5
	ds_read_b32 v36, v30
	s_and_saveexec_b64 s[2:3], vcc
	s_cbranch_execz .LBB0_25
; %bb.24:
	ds_read_b32 v10, v64 offset:3900
	ds_read_b32 v11, v31 offset:1872
	ds_read_b32 v39, v64 offset:5928
.LBB0_25:
	s_or_b64 exec, exec, s[2:3]
	s_mov_b32 s3, 0xa41b
	v_mul_u32_u24_sdwa v42, v66, s3 dst_sel:DWORD dst_unused:UNUSED_PAD src0_sel:WORD_0 src1_sel:DWORD
	v_sub_u16_sdwa v43, v66, v42 dst_sel:DWORD dst_unused:UNUSED_PAD src0_sel:DWORD src1_sel:WORD_1
	v_lshrrev_b16_e32 v43, 1, v43
	v_add_u16_sdwa v42, v43, v42 dst_sel:DWORD dst_unused:UNUSED_PAD src0_sel:DWORD src1_sel:WORD_1
	v_mul_u32_u24_sdwa v43, v65, s3 dst_sel:DWORD dst_unused:UNUSED_PAD src0_sel:WORD_0 src1_sel:DWORD
	v_sub_u16_sdwa v44, v65, v43 dst_sel:DWORD dst_unused:UNUSED_PAD src0_sel:DWORD src1_sel:WORD_1
	v_lshrrev_b16_e32 v44, 1, v44
	v_lshrrev_b16_e32 v67, 5, v42
	v_add_u16_sdwa v43, v44, v43 dst_sel:DWORD dst_unused:UNUSED_PAD src0_sel:DWORD src1_sel:WORD_1
	v_mul_lo_u16_e32 v42, 39, v67
	v_lshrrev_b16_e32 v68, 5, v43
	v_sub_u16_e32 v66, v66, v42
	v_mul_lo_u16_e32 v43, 39, v68
	v_lshlrev_b32_e32 v42, 4, v66
	v_sub_u16_e32 v65, v65, v43
	v_lshlrev_b32_e32 v43, 4, v65
	global_load_dwordx4 v[44:47], v42, s[4:5] offset:208
	global_load_dwordx4 v[48:51], v43, s[4:5] offset:208
	v_mul_u32_u24_sdwa v42, v33, s3 dst_sel:DWORD dst_unused:UNUSED_PAD src0_sel:WORD_0 src1_sel:DWORD
	v_sub_u16_sdwa v43, v33, v42 dst_sel:DWORD dst_unused:UNUSED_PAD src0_sel:DWORD src1_sel:WORD_1
	v_lshrrev_b16_e32 v43, 1, v43
	v_add_u16_sdwa v42, v43, v42 dst_sel:DWORD dst_unused:UNUSED_PAD src0_sel:DWORD src1_sel:WORD_1
	s_movk_i32 s2, 0xa5
	v_lshrrev_b16_e32 v42, 5, v42
	v_mul_lo_u16_sdwa v40, v4, s2 dst_sel:DWORD dst_unused:UNUSED_PAD src0_sel:BYTE_0 src1_sel:DWORD
	v_mul_lo_u16_e32 v42, 39, v42
	v_sub_u16_sdwa v41, v4, v40 dst_sel:DWORD dst_unused:UNUSED_PAD src0_sel:DWORD src1_sel:BYTE_1
	v_sub_u16_e32 v69, v33, v42
	v_lshrrev_b16_e32 v41, 1, v41
	v_lshlrev_b32_e32 v33, 4, v69
	global_load_dwordx4 v[52:55], v33, s[4:5] offset:208
	v_and_b32_e32 v33, 0x7f, v41
	v_mul_lo_u16_sdwa v41, v32, s2 dst_sel:DWORD dst_unused:UNUSED_PAD src0_sel:BYTE_0 src1_sel:DWORD
	v_add_u16_sdwa v33, v33, v40 dst_sel:DWORD dst_unused:UNUSED_PAD src0_sel:DWORD src1_sel:BYTE_1
	v_sub_u16_sdwa v42, v32, v41 dst_sel:DWORD dst_unused:UNUSED_PAD src0_sel:DWORD src1_sel:BYTE_1
	v_lshrrev_b16_e32 v33, 5, v33
	v_lshrrev_b16_e32 v42, 1, v42
	v_and_b32_e32 v70, 7, v33
	v_and_b32_e32 v42, 0x7f, v42
	v_mul_lo_u16_e32 v33, 39, v70
	v_add_u16_sdwa v41, v42, v41 dst_sel:DWORD dst_unused:UNUSED_PAD src0_sel:DWORD src1_sel:BYTE_1
	v_sub_u16_e32 v71, v4, v33
	v_mov_b32_e32 v33, 4
	v_lshrrev_b16_e32 v41, 5, v41
	v_lshlrev_b32_sdwa v40, v33, v71 dst_sel:DWORD dst_unused:UNUSED_PAD src0_sel:DWORD src1_sel:BYTE_0
	v_and_b32_e32 v72, 7, v41
	global_load_dwordx4 v[56:59], v40, s[4:5] offset:208
	v_mul_lo_u16_e32 v40, 39, v72
	v_sub_u16_e32 v73, v32, v40
	v_lshlrev_b32_sdwa v32, v33, v73 dst_sel:DWORD dst_unused:UNUSED_PAD src0_sel:DWORD src1_sel:BYTE_0
	global_load_dwordx4 v[60:63], v32, s[4:5] offset:208
	s_movk_i32 s2, 0x1d4
	s_waitcnt lgkmcnt(0)
	s_barrier
	s_mov_b32 s3, 0x5040100
	s_waitcnt vmcnt(4)
	v_mul_f32_e32 v42, v26, v45
	s_waitcnt vmcnt(3)
	v_mul_f32_e32 v40, v27, v49
	v_mul_f32_e32 v49, v21, v49
	;; [unrolled: 1-line block ×6, first 2 shown]
	v_fmac_f32_e32 v42, v20, v44
	v_fma_f32 v20, v27, v48, -v49
	v_fmac_f32_e32 v41, v23, v50
	v_fma_f32 v23, v29, v50, -v51
	v_mul_f32_e32 v47, v22, v47
	v_fmac_f32_e32 v43, v22, v46
	v_fmac_f32_e32 v40, v21, v48
	s_waitcnt vmcnt(2)
	v_mul_f32_e32 v32, v10, v53
	v_mul_f32_e32 v53, v38, v53
	;; [unrolled: 1-line block ×4, first 2 shown]
	v_fmac_f32_e32 v32, v38, v52
	v_fma_f32 v21, v10, v52, -v53
	v_fmac_f32_e32 v33, v6, v54
	v_fma_f32 v22, v39, v54, -v55
	v_fma_f32 v26, v26, v44, -v45
	;; [unrolled: 1-line block ×3, first 2 shown]
	s_waitcnt vmcnt(1)
	v_mul_f32_e32 v27, v14, v57
	v_mul_f32_e32 v29, v24, v59
	;; [unrolled: 1-line block ×4, first 2 shown]
	s_waitcnt vmcnt(0)
	v_mul_f32_e32 v6, v15, v61
	v_mul_f32_e32 v10, v25, v63
	v_fmac_f32_e32 v27, v16, v56
	v_fmac_f32_e32 v29, v18, v58
	v_mul_f32_e32 v44, v17, v61
	v_mul_f32_e32 v45, v19, v63
	v_fma_f32 v16, v14, v56, -v38
	v_fma_f32 v18, v24, v58, -v39
	v_fmac_f32_e32 v6, v17, v60
	v_fmac_f32_e32 v10, v19, v62
	v_add_f32_e32 v19, v27, v29
	v_fma_f32 v14, v15, v60, -v44
	v_fma_f32 v15, v25, v62, -v45
	v_add_f32_e32 v17, v12, v27
	v_fma_f32 v12, -0.5, v19, v12
	v_sub_f32_e32 v19, v16, v18
	v_add_f32_e32 v25, v6, v10
	v_fmamk_f32 v24, v19, 0xbf5db3d7, v12
	v_fmac_f32_e32 v12, 0x3f5db3d7, v19
	v_add_f32_e32 v19, v13, v6
	v_fmac_f32_e32 v13, -0.5, v25
	v_sub_f32_e32 v25, v14, v15
	v_fmamk_f32 v39, v25, 0xbf5db3d7, v13
	v_fmac_f32_e32 v13, 0x3f5db3d7, v25
	v_add_f32_e32 v25, v35, v42
	v_add_f32_e32 v44, v25, v43
	;; [unrolled: 1-line block ×3, first 2 shown]
	v_fmac_f32_e32 v35, -0.5, v25
	v_sub_f32_e32 v25, v26, v28
	v_fmamk_f32 v45, v25, 0xbf5db3d7, v35
	v_fmac_f32_e32 v35, 0x3f5db3d7, v25
	v_add_f32_e32 v25, v34, v40
	v_add_f32_e32 v46, v25, v41
	;; [unrolled: 1-line block ×3, first 2 shown]
	v_fmac_f32_e32 v34, -0.5, v25
	v_sub_f32_e32 v25, v20, v23
	v_mov_b32_e32 v38, 2
	v_fmamk_f32 v47, v25, 0xbf5db3d7, v34
	v_fmac_f32_e32 v34, 0x3f5db3d7, v25
	v_mul_u32_u24_sdwa v25, v70, s2 dst_sel:DWORD dst_unused:UNUSED_PAD src0_sel:WORD_0 src1_sel:DWORD
	v_lshlrev_b32_sdwa v48, v38, v71 dst_sel:DWORD dst_unused:UNUSED_PAD src0_sel:DWORD src1_sel:BYTE_0
	v_add_f32_e32 v17, v17, v29
	v_add3_u32 v25, 0, v25, v48
	ds_write2_b32 v25, v17, v24 offset1:39
	ds_write_b32 v25, v12 offset:312
	v_mul_u32_u24_sdwa v12, v72, s2 dst_sel:DWORD dst_unused:UNUSED_PAD src0_sel:WORD_0 src1_sel:DWORD
	v_lshlrev_b32_sdwa v17, v38, v73 dst_sel:DWORD dst_unused:UNUSED_PAD src0_sel:DWORD src1_sel:BYTE_0
	v_add3_u32 v38, 0, v12, v17
	v_perm_b32 v12, v68, v67, s3
	v_add_f32_e32 v19, v19, v10
	v_pk_mul_lo_u16 v12, v12, s2 op_sel_hi:[1,0]
	ds_write2_b32 v38, v19, v39 offset1:39
	ds_write_b32 v38, v13 offset:312
	v_and_b32_e32 v13, 0xfffc, v12
	v_lshlrev_b32_e32 v17, 2, v66
	v_add3_u32 v39, 0, v13, v17
	v_lshrrev_b32_e32 v12, 16, v12
	v_lshlrev_b32_e32 v13, 2, v65
	ds_write2_b32 v39, v44, v45 offset1:39
	ds_write_b32 v39, v35 offset:312
	v_add3_u32 v35, 0, v12, v13
	v_lshl_add_u32 v24, v69, 2, 0
	ds_write2_b32 v35, v46, v47 offset1:39
	ds_write_b32 v35, v34 offset:312
	s_and_saveexec_b64 s[2:3], vcc
	s_cbranch_execz .LBB0_27
; %bb.26:
	v_add_f32_e32 v12, v32, v33
	v_fma_f32 v12, -0.5, v12, v7
	v_sub_f32_e32 v13, v21, v22
	v_add_f32_e32 v7, v7, v32
	v_fmamk_f32 v17, v13, 0x3f5db3d7, v12
	v_fmac_f32_e32 v12, 0xbf5db3d7, v13
	v_add_f32_e32 v7, v7, v33
	v_add_u32_e32 v13, 0x1400, v24
	ds_write2_b32 v13, v7, v12 offset0:124 offset1:163
	ds_write_b32 v24, v17 offset:5928
.LBB0_27:
	s_or_b64 exec, exec, s[2:3]
	v_add_f32_e32 v7, v8, v16
	v_add_f32_e32 v34, v7, v18
	;; [unrolled: 1-line block ×3, first 2 shown]
	v_fma_f32 v44, -0.5, v7, v8
	v_sub_f32_e32 v7, v27, v29
	v_fmamk_f32 v27, v7, 0x3f5db3d7, v44
	v_fmac_f32_e32 v44, 0xbf5db3d7, v7
	v_add_f32_e32 v7, v9, v14
	v_add_f32_e32 v29, v7, v15
	v_add_f32_e32 v7, v14, v15
	v_fmac_f32_e32 v9, -0.5, v7
	v_sub_f32_e32 v6, v6, v10
	v_fmamk_f32 v45, v6, 0x3f5db3d7, v9
	v_fmac_f32_e32 v9, 0xbf5db3d7, v6
	v_add_f32_e32 v6, v37, v26
	v_add_f32_e32 v46, v6, v28
	v_add_f32_e32 v6, v26, v28
	v_fmac_f32_e32 v37, -0.5, v6
	;; [unrolled: 7-line block ×3, first 2 shown]
	v_sub_f32_e32 v6, v40, v41
	v_fmamk_f32 v23, v6, 0x3f5db3d7, v36
	v_fmac_f32_e32 v36, 0xbf5db3d7, v6
	s_waitcnt lgkmcnt(0)
	s_barrier
	ds_read2_b32 v[6:7], v64 offset1:117
	ds_read_b32 v10, v5
	ds_read_b32 v8, v30
	ds_read_b32 v20, v31 offset:1872
	v_add_u32_e32 v12, 0x800, v64
	ds_read2_b32 v[14:15], v12 offset0:73 offset1:190
	v_add_u32_e32 v12, 0xc00, v64
	v_add_u32_e32 v16, 0x1000, v64
	;; [unrolled: 1-line block ×3, first 2 shown]
	ds_read2_b32 v[12:13], v12 offset0:51 offset1:168
	ds_read2_b32 v[16:17], v16 offset0:29 offset1:146
	;; [unrolled: 1-line block ×3, first 2 shown]
	s_waitcnt lgkmcnt(0)
	s_barrier
	ds_write2_b32 v25, v34, v27 offset1:39
	ds_write_b32 v25, v44 offset:312
	ds_write2_b32 v38, v29, v45 offset1:39
	ds_write_b32 v38, v9 offset:312
	;; [unrolled: 2-line block ×4, first 2 shown]
	s_and_saveexec_b64 s[2:3], vcc
	s_cbranch_execz .LBB0_29
; %bb.28:
	v_add_f32_e32 v9, v11, v21
	v_add_f32_e32 v21, v21, v22
	v_fmac_f32_e32 v11, -0.5, v21
	v_sub_f32_e32 v21, v32, v33
	v_add_f32_e32 v9, v9, v22
	v_fmamk_f32 v22, v21, 0x3f5db3d7, v11
	v_fmamk_f32 v11, v21, 0xbf5db3d7, v11
	v_add_u32_e32 v21, 0x1400, v24
	ds_write2_b32 v21, v9, v22 offset0:124 offset1:163
	ds_write_b32 v24, v11 offset:5928
.LBB0_29:
	s_or_b64 exec, exec, s[2:3]
	s_waitcnt lgkmcnt(0)
	s_barrier
	s_and_saveexec_b64 s[2:3], s[0:1]
	s_cbranch_execz .LBB0_31
; %bb.30:
	v_mul_u32_u24_e32 v4, 12, v4
	v_lshlrev_b32_e32 v4, 3, v4
	global_load_dwordx4 v[22:25], v4, s[4:5] offset:912
	global_load_dwordx4 v[26:29], v4, s[4:5] offset:896
	;; [unrolled: 1-line block ×6, first 2 shown]
	v_add_u32_e32 v9, 0x1400, v64
	ds_read2_b32 v[48:49], v64 offset1:117
	v_add_u32_e32 v11, 0x1000, v64
	ds_read_b32 v4, v5
	ds_read_b32 v30, v30
	ds_read_b32 v50, v31 offset:1872
	v_add_u32_e32 v5, 0xc00, v64
	v_add_u32_e32 v21, 0x800, v64
	ds_read2_b32 v[68:69], v9 offset0:7 offset1:124
	ds_read2_b32 v[70:71], v11 offset0:29 offset1:146
	;; [unrolled: 1-line block ×4, first 2 shown]
	v_mov_b32_e32 v66, v7
	s_waitcnt lgkmcnt(3)
	v_mov_b32_e32 v80, v69
	s_waitcnt lgkmcnt(2)
	v_mov_b32_e32 v82, v71
	v_lshl_add_u64 v[0:1], v[2:3], 3, v[0:1]
	v_mov_b32_e32 v2, v19
	v_mov_b32_e32 v52, v19
	;; [unrolled: 1-line block ×6, first 2 shown]
	s_waitcnt lgkmcnt(1)
	v_mov_b32_e32 v84, v73
	s_waitcnt lgkmcnt(0)
	v_mov_b32_e32 v86, v75
	v_mov_b32_e32 v64, v15
	s_mov_b32 s0, 0xbeedf032
	s_mov_b32 s2, 0x3f62ad3f
	v_mov_b32_e32 v60, v13
	v_mov_b32_e32 v62, v15
	;; [unrolled: 1-line block ×3, first 2 shown]
	s_mov_b32 s10, 0xbf52af12
	v_mov_b32_e32 v58, v13
	s_mov_b32 s6, 0xbf7e222b
	s_mov_b32 s4, 0x3df6dbef
	;; [unrolled: 1-line block ×12, first 2 shown]
	s_waitcnt vmcnt(5)
	v_pk_mul_f32 v[80:81], v[80:81], v[24:25] op_sel_hi:[0,1]
	v_pk_mul_f32 v[68:69], v[68:69], v[22:23] op_sel_hi:[0,1]
	s_waitcnt vmcnt(4)
	v_pk_mul_f32 v[82:83], v[82:83], v[28:29] op_sel_hi:[0,1]
	s_waitcnt vmcnt(3)
	v_mov_b32_e32 v88, v35
	v_mov_b32_e32 v89, v34
	v_pk_mul_f32 v[20:21], v[20:21], v[34:35] op_sel_hi:[0,1]
	v_pk_mul_f32 v[34:35], v[70:71], v[26:27] op_sel_hi:[0,1]
	s_waitcnt vmcnt(0)
	v_pk_mul_f32 v[66:67], v[66:67], v[44:45] op_sel_hi:[0,1]
	v_pk_mul_f32 v[70:71], v[74:75], v[36:37] op_sel_hi:[0,1]
	;; [unrolled: 1-line block ×4, first 2 shown]
	v_pk_fma_f32 v[86:87], v[2:3], v[24:25], v[80:81] op_sel:[0,0,1] op_sel_hi:[1,1,0]
	v_pk_fma_f32 v[2:3], v[52:53], v[24:25], v[80:81] op_sel:[0,0,1] op_sel_hi:[0,1,0] neg_lo:[1,0,0] neg_hi:[1,0,0]
	v_pk_fma_f32 v[52:53], v[18:19], v[22:23], v[68:69] op_sel:[0,0,1] op_sel_hi:[1,1,0]
	v_pk_fma_f32 v[18:19], v[18:19], v[22:23], v[68:69] op_sel:[0,0,1] op_sel_hi:[0,1,0] neg_lo:[1,0,0] neg_hi:[1,0,0]
	;; [unrolled: 2-line block ×5, first 2 shown]
	v_pk_mul_f32 v[4:5], v[4:5], v[46:47] op_sel_hi:[0,1]
	v_mov_b32_e32 v87, v3
	v_mov_b32_e32 v29, v35
	v_pk_fma_f32 v[56:57], v[50:51], v[88:89], v[20:21]
	v_pk_fma_f32 v[20:21], v[50:51], v[88:89], v[20:21] op_sel_hi:[0,1,1] neg_lo:[0,0,1] neg_hi:[0,0,1]
	v_pk_fma_f32 v[26:27], v[64:65], v[38:39], v[84:85] op_sel:[0,0,1] op_sel_hi:[0,1,0] neg_lo:[1,0,0] neg_hi:[1,0,0]
	v_pk_fma_f32 v[64:65], v[10:11], v[46:47], v[4:5] op_sel:[0,0,1] op_sel_hi:[1,1,0]
	v_pk_fma_f32 v[4:5], v[10:11], v[46:47], v[4:5] op_sel:[0,0,1] op_sel_hi:[0,1,0] neg_lo:[1,0,0] neg_hi:[1,0,0]
	v_pk_add_f32 v[50:51], v[28:29], v[86:87] neg_lo:[0,1] neg_hi:[0,1]
	v_pk_mul_f32 v[30:31], v[30:31], v[32:33] op_sel_hi:[0,1]
	v_mov_b32_e32 v53, v19
	v_mov_b32_e32 v65, v5
	v_pk_add_f32 v[46:47], v[86:87], v[28:29]
	v_pk_mul_f32 v[4:5], v[50:51], s[0:1] op_sel_hi:[1,0]
	v_pk_mul_f32 v[72:73], v[72:73], v[40:41] op_sel_hi:[0,1]
	v_pk_fma_f32 v[66:67], v[8:9], v[32:33], v[30:31] op_sel:[0,0,1] op_sel_hi:[1,1,0]
	v_pk_fma_f32 v[8:9], v[8:9], v[32:33], v[30:31] op_sel:[0,0,1] op_sel_hi:[0,1,0] neg_lo:[1,0,0] neg_hi:[1,0,0]
	v_pk_add_f32 v[48:49], v[64:65], v[52:53] neg_lo:[0,1] neg_hi:[0,1]
	v_pk_fma_f32 v[2:3], v[46:47], s[2:3], v[4:5] op_sel:[0,0,1] op_sel_hi:[1,0,0]
	v_pk_fma_f32 v[4:5], v[46:47], s[2:3], v[4:5] op_sel:[0,0,1] op_sel_hi:[1,0,0] neg_lo:[0,0,1] neg_hi:[0,0,1]
	v_pk_fma_f32 v[24:25], v[60:61], v[42:43], v[74:75] op_sel:[0,0,1] op_sel_hi:[0,1,0] neg_lo:[1,0,0] neg_hi:[1,0,0]
	v_pk_fma_f32 v[60:61], v[62:63], v[38:39], v[84:85] op_sel:[0,0,1] op_sel_hi:[1,1,0]
	v_pk_fma_f32 v[62:63], v[12:13], v[40:41], v[72:73] op_sel:[0,0,1] op_sel_hi:[1,1,0]
	v_pk_fma_f32 v[12:13], v[12:13], v[40:41], v[72:73] op_sel:[0,0,1] op_sel_hi:[0,1,0] neg_lo:[1,0,0] neg_hi:[1,0,0]
	v_mov_b32_e32 v67, v9
	v_pk_add_f32 v[44:45], v[52:53], v[64:65]
	v_mov_b32_e32 v8, v2
	v_mov_b32_e32 v9, v5
	s_mov_b32 s0, 0x3f116cb1
	v_pk_mul_f32 v[10:11], v[48:49], s[10:11] op_sel_hi:[1,0]
	v_pk_fma_f32 v[80:81], v[14:15], v[36:37], v[70:71] op_sel:[0,0,1] op_sel_hi:[1,1,0]
	v_pk_fma_f32 v[14:15], v[14:15], v[36:37], v[70:71] op_sel:[0,0,1] op_sel_hi:[0,1,0] neg_lo:[1,0,0] neg_hi:[1,0,0]
	v_mov_b32_e32 v55, v23
	v_mov_b32_e32 v63, v13
	v_pk_add_f32 v[12:13], v[6:7], v[8:9]
	v_pk_fma_f32 v[8:9], v[44:45], s[0:1], v[10:11] op_sel:[0,0,1] op_sel_hi:[1,0,0]
	v_pk_fma_f32 v[10:11], v[44:45], s[0:1], v[10:11] op_sel:[0,0,1] op_sel_hi:[1,0,0] neg_lo:[0,0,1] neg_hi:[0,0,1]
	v_pk_fma_f32 v[58:59], v[58:59], v[42:43], v[74:75] op_sel:[0,0,1] op_sel_hi:[1,1,0]
	v_mov_b32_e32 v81, v15
	v_pk_add_f32 v[42:43], v[66:67], v[54:55] neg_lo:[0,1] neg_hi:[0,1]
	v_mov_b32_e32 v14, v8
	v_mov_b32_e32 v15, v11
	;; [unrolled: 1-line block ×3, first 2 shown]
	v_pk_add_f32 v[70:71], v[6:7], v[28:29]
	v_pk_add_f32 v[40:41], v[54:55], v[66:67]
	;; [unrolled: 1-line block ×3, first 2 shown]
	v_pk_mul_f32 v[14:15], v[42:43], s[6:7] op_sel_hi:[1,0]
	v_mov_b32_e32 v57, v21
	v_pk_fma_f32 v[12:13], v[40:41], s[4:5], v[14:15] op_sel:[0,0,1] op_sel_hi:[1,0,0]
	v_pk_fma_f32 v[14:15], v[40:41], s[4:5], v[14:15] op_sel:[0,0,1] op_sel_hi:[1,0,0] neg_lo:[0,0,1] neg_hi:[0,0,1]
	v_pk_add_f32 v[64:65], v[70:71], v[64:65]
	v_pk_add_f32 v[38:39], v[56:57], v[68:69] neg_lo:[0,1] neg_hi:[0,1]
	v_mov_b32_e32 v18, v12
	v_mov_b32_e32 v19, v15
	v_pk_add_f32 v[64:65], v[64:65], v[66:67]
	v_pk_add_f32 v[36:37], v[68:69], v[56:57]
	;; [unrolled: 1-line block ×3, first 2 shown]
	v_pk_mul_f32 v[18:19], v[38:39], s[14:15] op_sel_hi:[1,0]
	v_pk_add_f32 v[56:57], v[64:65], v[56:57]
	v_mov_b32_e32 v59, v25
	v_mov_b32_e32 v61, v27
	v_pk_fma_f32 v[16:17], v[36:37], s[12:13], v[18:19] op_sel:[0,0,1] op_sel_hi:[1,0,0]
	v_pk_fma_f32 v[18:19], v[36:37], s[12:13], v[18:19] op_sel:[0,0,1] op_sel_hi:[1,0,0] neg_lo:[0,0,1] neg_hi:[0,0,1]
	v_pk_add_f32 v[56:57], v[56:57], v[80:81]
	v_pk_add_f32 v[34:35], v[80:81], v[58:59] neg_lo:[0,1] neg_hi:[0,1]
	v_mov_b32_e32 v22, v16
	v_mov_b32_e32 v23, v19
	v_pk_add_f32 v[56:57], v[56:57], v[60:61]
	v_pk_add_f32 v[32:33], v[58:59], v[80:81]
	;; [unrolled: 1-line block ×3, first 2 shown]
	v_pk_mul_f32 v[22:23], v[34:35], s[18:19] op_sel_hi:[1,0]
	v_pk_add_f32 v[56:57], v[62:63], v[56:57]
	v_pk_fma_f32 v[20:21], v[32:33], s[16:17], v[22:23] op_sel:[0,0,1] op_sel_hi:[1,0,0]
	v_pk_fma_f32 v[22:23], v[32:33], s[16:17], v[22:23] op_sel:[0,0,1] op_sel_hi:[1,0,0] neg_lo:[0,0,1] neg_hi:[0,0,1]
	v_pk_add_f32 v[56:57], v[58:59], v[56:57]
	v_pk_add_f32 v[30:31], v[60:61], v[62:63] neg_lo:[0,1] neg_hi:[0,1]
	v_mov_b32_e32 v26, v20
	v_mov_b32_e32 v27, v23
	v_pk_add_f32 v[56:57], v[68:69], v[56:57]
	v_pk_add_f32 v[28:29], v[62:63], v[60:61]
	;; [unrolled: 1-line block ×3, first 2 shown]
	v_pk_mul_f32 v[26:27], v[30:31], s[24:25] op_sel_hi:[1,0]
	v_pk_add_f32 v[54:55], v[54:55], v[56:57]
	v_pk_fma_f32 v[24:25], v[28:29], s[8:9], v[26:27] op_sel:[0,0,1] op_sel_hi:[1,0,0]
	v_pk_fma_f32 v[26:27], v[28:29], s[8:9], v[26:27] op_sel:[0,0,1] op_sel_hi:[1,0,0] neg_lo:[0,0,1] neg_hi:[0,0,1]
	v_pk_add_f32 v[52:53], v[52:53], v[54:55]
	v_mov_b32_e32 v74, v24
	v_mov_b32_e32 v75, v27
	v_pk_add_f32 v[52:53], v[86:87], v[52:53]
	v_pk_mul_f32 v[54:55], v[50:51], s[10:11] op_sel_hi:[1,0]
	v_pk_add_f32 v[72:73], v[72:73], v[74:75]
	global_store_dwordx2 v[0:1], v[52:53], off
	global_store_dwordx2 v[0:1], v[72:73], off offset:936
	v_pk_fma_f32 v[52:53], v[46:47], s[0:1], v[54:55] op_sel:[0,0,1] op_sel_hi:[1,0,0]
	v_pk_fma_f32 v[54:55], v[46:47], s[0:1], v[54:55] op_sel:[0,0,1] op_sel_hi:[1,0,0] neg_lo:[0,0,1] neg_hi:[0,0,1]
	v_mov_b32_e32 v56, v52
	v_mov_b32_e32 v57, v55
	v_pk_mul_f32 v[58:59], v[48:49], s[14:15] op_sel_hi:[1,0]
	v_pk_add_f32 v[60:61], v[6:7], v[56:57]
	v_pk_fma_f32 v[56:57], v[44:45], s[12:13], v[58:59] op_sel:[0,0,1] op_sel_hi:[1,0,0]
	v_pk_fma_f32 v[58:59], v[44:45], s[12:13], v[58:59] op_sel:[0,0,1] op_sel_hi:[1,0,0] neg_lo:[0,0,1] neg_hi:[0,0,1]
	v_mov_b32_e32 v62, v56
	v_mov_b32_e32 v63, v59
	v_pk_add_f32 v[64:65], v[60:61], v[62:63]
	v_pk_mul_f32 v[62:63], v[42:43], s[24:25] op_sel_hi:[1,0]
	v_pk_mul_f32 v[82:83], v[48:49], s[24:25] op_sel_hi:[1,0]
	v_pk_fma_f32 v[60:61], v[40:41], s[8:9], v[62:63] op_sel:[0,0,1] op_sel_hi:[1,0,0]
	v_pk_fma_f32 v[62:63], v[40:41], s[8:9], v[62:63] op_sel:[0,0,1] op_sel_hi:[1,0,0] neg_lo:[0,0,1] neg_hi:[0,0,1]
	v_mov_b32_e32 v66, v60
	v_mov_b32_e32 v67, v63
	v_pk_add_f32 v[68:69], v[64:65], v[66:67]
	v_pk_mul_f32 v[66:67], v[38:39], s[20:21] op_sel_hi:[1,0]
	v_pk_mul_f32 v[92:93], v[48:49], s[26:27] op_sel_hi:[1,0]
	v_pk_fma_f32 v[64:65], v[36:37], s[16:17], v[66:67] op_sel:[0,0,1] op_sel_hi:[1,0,0]
	v_pk_fma_f32 v[66:67], v[36:37], s[16:17], v[66:67] op_sel:[0,0,1] op_sel_hi:[1,0,0] neg_lo:[0,0,1] neg_hi:[0,0,1]
	v_mov_b32_e32 v70, v64
	v_mov_b32_e32 v71, v67
	v_pk_add_f32 v[72:73], v[68:69], v[70:71]
	v_pk_mul_f32 v[70:71], v[34:35], s[26:27] op_sel_hi:[1,0]
	v_pk_fma_f32 v[94:95], v[44:45], s[4:5], v[92:93] op_sel:[0,0,1] op_sel_hi:[1,0,0]
	v_pk_fma_f32 v[68:69], v[32:33], s[4:5], v[70:71] op_sel:[0,0,1] op_sel_hi:[1,0,0]
	v_pk_fma_f32 v[70:71], v[32:33], s[4:5], v[70:71] op_sel:[0,0,1] op_sel_hi:[1,0,0] neg_lo:[0,0,1] neg_hi:[0,0,1]
	v_mov_b32_e32 v74, v68
	v_mov_b32_e32 v75, v71
	v_pk_add_f32 v[76:77], v[72:73], v[74:75]
	v_pk_mul_f32 v[74:75], v[30:31], s[22:23] op_sel_hi:[1,0]
	v_pk_fma_f32 v[92:93], v[44:45], s[4:5], v[92:93] op_sel:[0,0,1] op_sel_hi:[1,0,0] neg_lo:[0,0,1] neg_hi:[0,0,1]
	v_pk_fma_f32 v[72:73], v[28:29], s[2:3], v[74:75] op_sel:[0,0,1] op_sel_hi:[1,0,0]
	v_pk_fma_f32 v[74:75], v[28:29], s[2:3], v[74:75] op_sel:[0,0,1] op_sel_hi:[1,0,0] neg_lo:[0,0,1] neg_hi:[0,0,1]
	v_mov_b32_e32 v78, v72
	v_mov_b32_e32 v79, v75
	v_pk_add_f32 v[76:77], v[76:77], v[78:79]
	v_pk_mul_f32 v[78:79], v[50:51], s[6:7] op_sel_hi:[1,0]
	global_store_dwordx2 v[0:1], v[76:77], off offset:1872
	v_pk_fma_f32 v[76:77], v[46:47], s[4:5], v[78:79] op_sel:[0,0,1] op_sel_hi:[1,0,0]
	v_pk_fma_f32 v[78:79], v[46:47], s[4:5], v[78:79] op_sel:[0,0,1] op_sel_hi:[1,0,0] neg_lo:[0,0,1] neg_hi:[0,0,1]
	v_mov_b32_e32 v80, v76
	v_mov_b32_e32 v81, v79
	v_pk_add_f32 v[84:85], v[6:7], v[80:81]
	v_pk_fma_f32 v[80:81], v[44:45], s[8:9], v[82:83] op_sel:[0,0,1] op_sel_hi:[1,0,0]
	v_pk_fma_f32 v[82:83], v[44:45], s[8:9], v[82:83] op_sel:[0,0,1] op_sel_hi:[1,0,0] neg_lo:[0,0,1] neg_hi:[0,0,1]
	v_mov_b32_e32 v86, v80
	v_mov_b32_e32 v87, v83
	v_pk_add_f32 v[84:85], v[84:85], v[86:87]
	v_pk_mul_f32 v[86:87], v[50:51], s[18:19] op_sel_hi:[1,0]
	v_mov_b32_e32 v96, v94
	v_pk_fma_f32 v[88:89], v[46:47], s[16:17], v[86:87] op_sel:[0,0,1] op_sel_hi:[1,0,0]
	v_pk_fma_f32 v[86:87], v[46:47], s[16:17], v[86:87] op_sel:[0,0,1] op_sel_hi:[1,0,0] neg_lo:[0,0,1] neg_hi:[0,0,1]
	v_mov_b32_e32 v90, v88
	v_mov_b32_e32 v91, v87
	v_pk_add_f32 v[90:91], v[6:7], v[90:91]
	v_mov_b32_e32 v97, v93
	v_pk_add_f32 v[90:91], v[90:91], v[96:97]
	v_pk_mul_f32 v[96:97], v[42:43], s[10:11] op_sel_hi:[1,0]
	v_pk_mul_f32 v[118:119], v[48:49], s[22:23] op_sel_hi:[1,0]
	v_pk_fma_f32 v[98:99], v[40:41], s[0:1], v[96:97] op_sel:[0,0,1] op_sel_hi:[1,0,0]
	v_pk_fma_f32 v[96:97], v[40:41], s[0:1], v[96:97] op_sel:[0,0,1] op_sel_hi:[1,0,0] neg_lo:[0,0,1] neg_hi:[0,0,1]
	v_mov_b32_e32 v100, v98
	v_mov_b32_e32 v101, v97
	v_pk_add_f32 v[90:91], v[90:91], v[100:101]
	v_pk_mul_f32 v[100:101], v[38:39], s[28:29] op_sel_hi:[1,0]
	s_movk_i32 s1, 0x1000
	v_pk_fma_f32 v[102:103], v[36:37], s[8:9], v[100:101] op_sel:[0,0,1] op_sel_hi:[1,0,0]
	v_pk_fma_f32 v[100:101], v[36:37], s[8:9], v[100:101] op_sel:[0,0,1] op_sel_hi:[1,0,0] neg_lo:[0,0,1] neg_hi:[0,0,1]
	v_mov_b32_e32 v104, v102
	v_mov_b32_e32 v105, v101
	v_pk_add_f32 v[90:91], v[90:91], v[104:105]
	v_pk_mul_f32 v[104:105], v[34:35], s[22:23] op_sel_hi:[1,0]
	v_pk_fma_f32 v[120:121], v[44:45], s[2:3], v[118:119] op_sel:[0,0,1] op_sel_hi:[1,0,0]
	v_pk_fma_f32 v[106:107], v[32:33], s[2:3], v[104:105] op_sel:[0,0,1] op_sel_hi:[1,0,0]
	v_pk_fma_f32 v[104:105], v[32:33], s[2:3], v[104:105] op_sel:[0,0,1] op_sel_hi:[1,0,0] neg_lo:[0,0,1] neg_hi:[0,0,1]
	v_mov_b32_e32 v108, v106
	v_mov_b32_e32 v109, v105
	v_pk_add_f32 v[90:91], v[90:91], v[108:109]
	v_pk_mul_f32 v[108:109], v[30:31], s[14:15] op_sel_hi:[1,0]
	v_pk_fma_f32 v[118:119], v[44:45], s[2:3], v[118:119] op_sel:[0,0,1] op_sel_hi:[1,0,0] neg_lo:[0,0,1] neg_hi:[0,0,1]
	v_pk_fma_f32 v[110:111], v[28:29], s[12:13], v[108:109] op_sel:[0,0,1] op_sel_hi:[1,0,0]
	v_pk_fma_f32 v[108:109], v[28:29], s[12:13], v[108:109] op_sel:[0,0,1] op_sel_hi:[1,0,0] neg_lo:[0,0,1] neg_hi:[0,0,1]
	v_mov_b32_e32 v112, v110
	v_mov_b32_e32 v113, v109
	v_pk_add_f32 v[90:91], v[90:91], v[112:113]
	v_add_co_u32_e32 v112, vcc, s1, v0
	v_mov_b32_e32 v122, v120
	s_nop 0
	v_addc_co_u32_e32 v113, vcc, 0, v1, vcc
	global_store_dwordx2 v[112:113], v[90:91], off offset:584
	v_pk_mul_f32 v[90:91], v[50:51], s[24:25] op_sel_hi:[1,0]
	v_mov_b32_e32 v123, v119
	v_pk_fma_f32 v[114:115], v[46:47], s[8:9], v[90:91] op_sel:[0,0,1] op_sel_hi:[1,0,0]
	v_pk_fma_f32 v[90:91], v[46:47], s[8:9], v[90:91] op_sel:[0,0,1] op_sel_hi:[1,0,0] neg_lo:[0,0,1] neg_hi:[0,0,1]
	v_mov_b32_e32 v116, v114
	v_mov_b32_e32 v117, v91
	v_pk_add_f32 v[116:117], v[6:7], v[116:117]
	s_mov_b32 s24, 0x3f52af12
	v_pk_add_f32 v[116:117], v[116:117], v[122:123]
	v_pk_mul_f32 v[122:123], v[42:43], s[18:19] op_sel_hi:[1,0]
	v_mov_b32_e32 v87, v89
	v_pk_fma_f32 v[124:125], v[40:41], s[16:17], v[122:123] op_sel:[0,0,1] op_sel_hi:[1,0,0]
	v_pk_fma_f32 v[122:123], v[40:41], s[16:17], v[122:123] op_sel:[0,0,1] op_sel_hi:[1,0,0] neg_lo:[0,0,1] neg_hi:[0,0,1]
	v_mov_b32_e32 v126, v124
	v_mov_b32_e32 v127, v123
	v_pk_add_f32 v[116:117], v[116:117], v[126:127]
	v_pk_mul_f32 v[126:127], v[38:39], s[24:25] op_sel_hi:[1,0]
	v_mov_b32_e32 v91, v115
	v_pk_fma_f32 v[128:129], v[36:37], s[0:1], v[126:127] op_sel:[0,0,1] op_sel_hi:[1,0,0]
	v_pk_fma_f32 v[126:127], v[36:37], s[0:1], v[126:127] op_sel:[0,0,1] op_sel_hi:[1,0,0] neg_lo:[0,0,1] neg_hi:[0,0,1]
	v_mov_b32_e32 v130, v128
	v_mov_b32_e32 v131, v127
	v_pk_add_f32 v[116:117], v[116:117], v[130:131]
	v_pk_mul_f32 v[130:131], v[34:35], s[14:15] op_sel_hi:[1,0]
	v_mov_b32_e32 v93, v95
	v_pk_add_f32 v[86:87], v[6:7], v[86:87]
	v_pk_fma_f32 v[132:133], v[32:33], s[12:13], v[130:131] op_sel:[0,0,1] op_sel_hi:[1,0,0]
	v_pk_fma_f32 v[130:131], v[32:33], s[12:13], v[130:131] op_sel:[0,0,1] op_sel_hi:[1,0,0] neg_lo:[0,0,1] neg_hi:[0,0,1]
	v_mov_b32_e32 v119, v121
	v_pk_add_f32 v[90:91], v[6:7], v[90:91]
	v_pk_add_f32 v[86:87], v[86:87], v[92:93]
	v_mov_b32_e32 v97, v99
	v_mov_b32_e32 v134, v132
	;; [unrolled: 1-line block ×3, first 2 shown]
	v_pk_add_f32 v[90:91], v[90:91], v[118:119]
	v_mov_b32_e32 v123, v125
	v_pk_add_f32 v[86:87], v[86:87], v[96:97]
	v_mov_b32_e32 v101, v103
	v_pk_add_f32 v[116:117], v[116:117], v[134:135]
	v_pk_mul_f32 v[134:135], v[30:31], s[26:27] op_sel_hi:[1,0]
	v_pk_add_f32 v[90:91], v[90:91], v[122:123]
	v_mov_b32_e32 v127, v129
	v_pk_add_f32 v[86:87], v[86:87], v[100:101]
	v_mov_b32_e32 v105, v107
	v_pk_fma_f32 v[136:137], v[28:29], s[4:5], v[134:135] op_sel:[0,0,1] op_sel_hi:[1,0,0]
	v_pk_fma_f32 v[134:135], v[28:29], s[4:5], v[134:135] op_sel:[0,0,1] op_sel_hi:[1,0,0] neg_lo:[0,0,1] neg_hi:[0,0,1]
	v_pk_add_f32 v[90:91], v[90:91], v[126:127]
	v_mov_b32_e32 v131, v133
	v_pk_add_f32 v[86:87], v[86:87], v[104:105]
	v_mov_b32_e32 v109, v111
	s_mov_b32 s26, 0x3f6f5d39
	v_mov_b32_e32 v139, v135
	v_pk_add_f32 v[90:91], v[90:91], v[130:131]
	v_mov_b32_e32 v135, v137
	v_pk_add_f32 v[86:87], v[86:87], v[108:109]
	v_pk_mul_f32 v[88:89], v[42:43], s[26:27] op_sel_hi:[1,0]
	v_pk_add_f32 v[90:91], v[90:91], v[134:135]
	global_store_dwordx2 v[112:113], v[86:87], off offset:3392
	v_pk_fma_f32 v[86:87], v[40:41], s[12:13], v[88:89] op_sel:[0,0,1] op_sel_hi:[1,0,0]
	v_pk_fma_f32 v[88:89], v[40:41], s[12:13], v[88:89] op_sel:[0,0,1] op_sel_hi:[1,0,0] neg_lo:[0,0,1] neg_hi:[0,0,1]
	global_store_dwordx2 v[112:113], v[90:91], off offset:2456
	v_mov_b32_e32 v90, v86
	v_mov_b32_e32 v91, v89
	v_pk_add_f32 v[84:85], v[84:85], v[90:91]
	v_pk_mul_f32 v[90:91], v[38:39], s[22:23] op_sel_hi:[1,0]
	v_pk_mul_f32 v[50:51], v[50:51], s[14:15] op_sel_hi:[1,0]
	v_pk_fma_f32 v[92:93], v[36:37], s[2:3], v[90:91] op_sel:[0,0,1] op_sel_hi:[1,0,0]
	v_pk_fma_f32 v[90:91], v[36:37], s[2:3], v[90:91] op_sel:[0,0,1] op_sel_hi:[1,0,0] neg_lo:[0,0,1] neg_hi:[0,0,1]
	v_mov_b32_e32 v94, v92
	v_mov_b32_e32 v95, v91
	v_pk_add_f32 v[84:85], v[84:85], v[94:95]
	v_pk_mul_f32 v[94:95], v[34:35], s[10:11] op_sel_hi:[1,0]
	v_pk_mul_f32 v[48:49], v[48:49], s[20:21] op_sel_hi:[1,0]
	v_pk_fma_f32 v[96:97], v[32:33], s[0:1], v[94:95] op_sel:[0,0,1] op_sel_hi:[1,0,0]
	v_pk_fma_f32 v[94:95], v[32:33], s[0:1], v[94:95] op_sel:[0,0,1] op_sel_hi:[1,0,0] neg_lo:[0,0,1] neg_hi:[0,0,1]
	;; [unrolled: 7-line block ×3, first 2 shown]
	v_mov_b32_e32 v102, v100
	v_mov_b32_e32 v103, v99
	v_pk_add_f32 v[84:85], v[84:85], v[102:103]
	global_store_dwordx2 v[0:1], v[84:85], off offset:2808
	v_pk_fma_f32 v[84:85], v[46:47], s[12:13], v[50:51] op_sel:[0,0,1] op_sel_hi:[1,0,0]
	v_pk_fma_f32 v[46:47], v[46:47], s[12:13], v[50:51] op_sel:[0,0,1] op_sel_hi:[1,0,0] neg_lo:[0,0,1] neg_hi:[0,0,1]
	v_pk_fma_f32 v[50:51], v[44:45], s[16:17], v[48:49] op_sel:[0,0,1] op_sel_hi:[1,0,0]
	v_pk_fma_f32 v[44:45], v[44:45], s[16:17], v[48:49] op_sel:[0,0,1] op_sel_hi:[1,0,0] neg_lo:[0,0,1] neg_hi:[0,0,1]
	v_mov_b32_e32 v48, v84
	v_mov_b32_e32 v49, v47
	v_pk_add_f32 v[48:49], v[6:7], v[48:49]
	v_mov_b32_e32 v102, v50
	v_mov_b32_e32 v103, v45
	v_pk_add_f32 v[48:49], v[48:49], v[102:103]
	v_pk_fma_f32 v[102:103], v[40:41], s[2:3], v[42:43] op_sel:[0,0,1] op_sel_hi:[1,0,0]
	v_pk_fma_f32 v[40:41], v[40:41], s[2:3], v[42:43] op_sel:[0,0,1] op_sel_hi:[1,0,0] neg_lo:[0,0,1] neg_hi:[0,0,1]
	v_mov_b32_e32 v42, v102
	v_mov_b32_e32 v43, v41
	v_pk_mul_f32 v[38:39], v[38:39], s[6:7] op_sel_hi:[1,0]
	v_pk_add_f32 v[42:43], v[48:49], v[42:43]
	v_pk_fma_f32 v[48:49], v[36:37], s[4:5], v[38:39] op_sel:[0,0,1] op_sel_hi:[1,0,0]
	v_pk_fma_f32 v[36:37], v[36:37], s[4:5], v[38:39] op_sel:[0,0,1] op_sel_hi:[1,0,0] neg_lo:[0,0,1] neg_hi:[0,0,1]
	v_mov_b32_e32 v38, v48
	v_mov_b32_e32 v39, v37
	v_pk_mul_f32 v[34:35], v[34:35], s[28:29] op_sel_hi:[1,0]
	;; [unrolled: 6-line block ×3, first 2 shown]
	v_pk_add_f32 v[34:35], v[38:39], v[34:35]
	v_pk_fma_f32 v[38:39], v[28:29], s[0:1], v[30:31] op_sel:[0,0,1] op_sel_hi:[1,0,0]
	v_pk_fma_f32 v[28:29], v[28:29], s[0:1], v[30:31] op_sel:[0,0,1] op_sel_hi:[1,0,0] neg_lo:[0,0,1] neg_hi:[0,0,1]
	v_mov_b32_e32 v30, v38
	v_mov_b32_e32 v31, v29
	v_pk_add_f32 v[30:31], v[34:35], v[30:31]
	v_mov_b32_e32 v47, v85
	global_store_dwordx2 v[0:1], v[30:31], off offset:3744
	v_mov_b32_e32 v45, v51
	v_pk_add_f32 v[30:31], v[6:7], v[46:47]
	v_mov_b32_e32 v41, v103
	v_pk_add_f32 v[30:31], v[30:31], v[44:45]
	;; [unrolled: 2-line block ×4, first 2 shown]
	s_movk_i32 s0, 0x2000
	v_pk_add_f32 v[30:31], v[30:31], v[32:33]
	v_mov_b32_e32 v29, v39
	v_add_co_u32_e32 v0, vcc, s0, v0
	v_pk_add_f32 v[28:29], v[30:31], v[28:29]
	s_nop 0
	v_addc_co_u32_e32 v1, vcc, 0, v1, vcc
	v_mov_b32_e32 v79, v77
	global_store_dwordx2 v[0:1], v[28:29], off offset:232
	v_pk_add_f32 v[28:29], v[6:7], v[78:79]
	v_mov_b32_e32 v83, v81
	v_pk_add_f32 v[28:29], v[28:29], v[82:83]
	v_mov_b32_e32 v89, v87
	;; [unrolled: 2-line block ×6, first 2 shown]
	v_mov_b32_e32 v5, v3
	global_store_dwordx2 v[0:1], v[28:29], off offset:1168
	v_pk_add_f32 v[28:29], v[6:7], v[54:55]
	v_mov_b32_e32 v59, v57
	v_pk_add_f32 v[2:3], v[6:7], v[4:5]
	v_mov_b32_e32 v11, v9
	;; [unrolled: 2-line block ×8, first 2 shown]
	v_mov_b32_e32 v138, v136
	v_pk_add_f32 v[28:29], v[28:29], v[70:71]
	v_mov_b32_e32 v75, v73
	v_pk_add_f32 v[2:3], v[2:3], v[22:23]
	;; [unrolled: 2-line block ×3, first 2 shown]
	v_pk_add_f32 v[28:29], v[28:29], v[74:75]
	v_pk_add_f32 v[2:3], v[2:3], v[26:27]
	global_store_dwordx2 v[112:113], v[116:117], off offset:1520
	global_store_dwordx2 v[0:1], v[28:29], off offset:2104
	;; [unrolled: 1-line block ×3, first 2 shown]
.LBB0_31:
	s_endpgm
	.section	.rodata,"a",@progbits
	.p2align	6, 0x0
	.amdhsa_kernel fft_rtc_back_len1521_factors_13_3_3_13_wgs_117_tpt_117_halfLds_sp_ip_CI_unitstride_sbrr_dirReg
		.amdhsa_group_segment_fixed_size 0
		.amdhsa_private_segment_fixed_size 0
		.amdhsa_kernarg_size 88
		.amdhsa_user_sgpr_count 2
		.amdhsa_user_sgpr_dispatch_ptr 0
		.amdhsa_user_sgpr_queue_ptr 0
		.amdhsa_user_sgpr_kernarg_segment_ptr 1
		.amdhsa_user_sgpr_dispatch_id 0
		.amdhsa_user_sgpr_kernarg_preload_length 0
		.amdhsa_user_sgpr_kernarg_preload_offset 0
		.amdhsa_user_sgpr_private_segment_size 0
		.amdhsa_uses_dynamic_stack 0
		.amdhsa_enable_private_segment 0
		.amdhsa_system_sgpr_workgroup_id_x 1
		.amdhsa_system_sgpr_workgroup_id_y 0
		.amdhsa_system_sgpr_workgroup_id_z 0
		.amdhsa_system_sgpr_workgroup_info 0
		.amdhsa_system_vgpr_workitem_id 0
		.amdhsa_next_free_vgpr 140
		.amdhsa_next_free_sgpr 58
		.amdhsa_accum_offset 140
		.amdhsa_reserve_vcc 1
		.amdhsa_float_round_mode_32 0
		.amdhsa_float_round_mode_16_64 0
		.amdhsa_float_denorm_mode_32 3
		.amdhsa_float_denorm_mode_16_64 3
		.amdhsa_dx10_clamp 1
		.amdhsa_ieee_mode 1
		.amdhsa_fp16_overflow 0
		.amdhsa_tg_split 0
		.amdhsa_exception_fp_ieee_invalid_op 0
		.amdhsa_exception_fp_denorm_src 0
		.amdhsa_exception_fp_ieee_div_zero 0
		.amdhsa_exception_fp_ieee_overflow 0
		.amdhsa_exception_fp_ieee_underflow 0
		.amdhsa_exception_fp_ieee_inexact 0
		.amdhsa_exception_int_div_zero 0
	.end_amdhsa_kernel
	.text
.Lfunc_end0:
	.size	fft_rtc_back_len1521_factors_13_3_3_13_wgs_117_tpt_117_halfLds_sp_ip_CI_unitstride_sbrr_dirReg, .Lfunc_end0-fft_rtc_back_len1521_factors_13_3_3_13_wgs_117_tpt_117_halfLds_sp_ip_CI_unitstride_sbrr_dirReg
                                        ; -- End function
	.section	.AMDGPU.csdata,"",@progbits
; Kernel info:
; codeLenInByte = 10260
; NumSgprs: 64
; NumVgprs: 140
; NumAgprs: 0
; TotalNumVgprs: 140
; ScratchSize: 0
; MemoryBound: 0
; FloatMode: 240
; IeeeMode: 1
; LDSByteSize: 0 bytes/workgroup (compile time only)
; SGPRBlocks: 7
; VGPRBlocks: 17
; NumSGPRsForWavesPerEU: 64
; NumVGPRsForWavesPerEU: 140
; AccumOffset: 140
; Occupancy: 3
; WaveLimiterHint : 1
; COMPUTE_PGM_RSRC2:SCRATCH_EN: 0
; COMPUTE_PGM_RSRC2:USER_SGPR: 2
; COMPUTE_PGM_RSRC2:TRAP_HANDLER: 0
; COMPUTE_PGM_RSRC2:TGID_X_EN: 1
; COMPUTE_PGM_RSRC2:TGID_Y_EN: 0
; COMPUTE_PGM_RSRC2:TGID_Z_EN: 0
; COMPUTE_PGM_RSRC2:TIDIG_COMP_CNT: 0
; COMPUTE_PGM_RSRC3_GFX90A:ACCUM_OFFSET: 34
; COMPUTE_PGM_RSRC3_GFX90A:TG_SPLIT: 0
	.text
	.p2alignl 6, 3212836864
	.fill 256, 4, 3212836864
	.type	__hip_cuid_629d555f3d674a32,@object ; @__hip_cuid_629d555f3d674a32
	.section	.bss,"aw",@nobits
	.globl	__hip_cuid_629d555f3d674a32
__hip_cuid_629d555f3d674a32:
	.byte	0                               ; 0x0
	.size	__hip_cuid_629d555f3d674a32, 1

	.ident	"AMD clang version 19.0.0git (https://github.com/RadeonOpenCompute/llvm-project roc-6.4.0 25133 c7fe45cf4b819c5991fe208aaa96edf142730f1d)"
	.section	".note.GNU-stack","",@progbits
	.addrsig
	.addrsig_sym __hip_cuid_629d555f3d674a32
	.amdgpu_metadata
---
amdhsa.kernels:
  - .agpr_count:     0
    .args:
      - .actual_access:  read_only
        .address_space:  global
        .offset:         0
        .size:           8
        .value_kind:     global_buffer
      - .offset:         8
        .size:           8
        .value_kind:     by_value
      - .actual_access:  read_only
        .address_space:  global
        .offset:         16
        .size:           8
        .value_kind:     global_buffer
      - .actual_access:  read_only
        .address_space:  global
        .offset:         24
        .size:           8
        .value_kind:     global_buffer
      - .offset:         32
        .size:           8
        .value_kind:     by_value
      - .actual_access:  read_only
        .address_space:  global
        .offset:         40
        .size:           8
        .value_kind:     global_buffer
      - .actual_access:  read_only
        .address_space:  global
        .offset:         48
        .size:           8
        .value_kind:     global_buffer
      - .offset:         56
        .size:           4
        .value_kind:     by_value
      - .actual_access:  read_only
        .address_space:  global
        .offset:         64
        .size:           8
        .value_kind:     global_buffer
      - .actual_access:  read_only
        .address_space:  global
        .offset:         72
        .size:           8
        .value_kind:     global_buffer
      - .address_space:  global
        .offset:         80
        .size:           8
        .value_kind:     global_buffer
    .group_segment_fixed_size: 0
    .kernarg_segment_align: 8
    .kernarg_segment_size: 88
    .language:       OpenCL C
    .language_version:
      - 2
      - 0
    .max_flat_workgroup_size: 117
    .name:           fft_rtc_back_len1521_factors_13_3_3_13_wgs_117_tpt_117_halfLds_sp_ip_CI_unitstride_sbrr_dirReg
    .private_segment_fixed_size: 0
    .sgpr_count:     64
    .sgpr_spill_count: 0
    .symbol:         fft_rtc_back_len1521_factors_13_3_3_13_wgs_117_tpt_117_halfLds_sp_ip_CI_unitstride_sbrr_dirReg.kd
    .uniform_work_group_size: 1
    .uses_dynamic_stack: false
    .vgpr_count:     140
    .vgpr_spill_count: 0
    .wavefront_size: 64
amdhsa.target:   amdgcn-amd-amdhsa--gfx950
amdhsa.version:
  - 1
  - 2
...

	.end_amdgpu_metadata
